;; amdgpu-corpus repo=ROCm/rocFFT kind=compiled arch=gfx1100 opt=O3
	.text
	.amdgcn_target "amdgcn-amd-amdhsa--gfx1100"
	.amdhsa_code_object_version 6
	.protected	bluestein_single_fwd_len1296_dim1_dp_op_CI_CI ; -- Begin function bluestein_single_fwd_len1296_dim1_dp_op_CI_CI
	.globl	bluestein_single_fwd_len1296_dim1_dp_op_CI_CI
	.p2align	8
	.type	bluestein_single_fwd_len1296_dim1_dp_op_CI_CI,@function
bluestein_single_fwd_len1296_dim1_dp_op_CI_CI: ; @bluestein_single_fwd_len1296_dim1_dp_op_CI_CI
; %bb.0:
	s_load_b128 s[16:19], s[0:1], 0x28
	v_mul_u32_u24_e32 v1, 0x25f, v0
	s_mov_b32 s2, exec_lo
	v_mov_b32_e32 v169, 0
	s_delay_alu instid0(VALU_DEP_2) | instskip(NEXT) | instid1(VALU_DEP_1)
	v_lshrrev_b32_e32 v1, 16, v1
	v_add_nc_u32_e32 v168, s15, v1
	s_waitcnt lgkmcnt(0)
	s_delay_alu instid0(VALU_DEP_1)
	v_cmpx_gt_u64_e64 s[16:17], v[168:169]
	s_cbranch_execz .LBB0_2
; %bb.1:
	s_clause 0x1
	s_load_b128 s[4:7], s[0:1], 0x18
	s_load_b128 s[8:11], s[0:1], 0x0
	v_mul_lo_u16 v1, 0x6c, v1
	s_load_b64 s[0:1], s[0:1], 0x38
	s_delay_alu instid0(VALU_DEP_1) | instskip(NEXT) | instid1(VALU_DEP_1)
	v_sub_nc_u16 v52, v0, v1
	v_and_b32_e32 v169, 0xffff, v52
	s_delay_alu instid0(VALU_DEP_1)
	v_lshlrev_b32_e32 v170, 4, v169
	s_waitcnt lgkmcnt(0)
	s_load_b128 s[12:15], s[4:5], 0x0
	global_load_b128 v[30:33], v170, s[8:9]
	s_waitcnt lgkmcnt(0)
	v_mad_u64_u32 v[0:1], null, s14, v168, 0
	v_mad_u64_u32 v[2:3], null, s12, v169, 0
	s_mul_i32 s2, s13, 0xd80
	s_mul_hi_u32 s3, s12, 0xd80
	s_mul_i32 s4, s12, 0xd80
	s_add_i32 s3, s3, s2
	v_add_co_u32 v171, s2, s8, v170
	s_delay_alu instid0(VALU_DEP_2) | instskip(SKIP_2) | instid1(SALU_CYCLE_1)
	v_mad_u64_u32 v[4:5], null, s15, v168, v[1:2]
	v_add_co_ci_u32_e64 v172, null, s9, 0, s2
	s_mul_i32 s2, s13, 0xffffc340
	s_sub_i32 s2, s2, s12
	s_delay_alu instid0(VALU_DEP_2) | instskip(SKIP_1) | instid1(VALU_DEP_2)
	v_mov_b32_e32 v1, v4
	v_mad_u64_u32 v[5:6], null, s13, v169, v[3:4]
	v_lshlrev_b64 v[0:1], 4, v[0:1]
	s_delay_alu instid0(VALU_DEP_2) | instskip(NEXT) | instid1(VALU_DEP_2)
	v_mov_b32_e32 v3, v5
	v_add_co_u32 v0, vcc_lo, s18, v0
	s_delay_alu instid0(VALU_DEP_3) | instskip(NEXT) | instid1(VALU_DEP_3)
	v_add_co_ci_u32_e32 v1, vcc_lo, s19, v1, vcc_lo
	v_lshlrev_b64 v[2:3], 4, v[2:3]
	s_delay_alu instid0(VALU_DEP_1) | instskip(NEXT) | instid1(VALU_DEP_2)
	v_add_co_u32 v0, vcc_lo, v0, v2
	v_add_co_ci_u32_e32 v1, vcc_lo, v1, v3, vcc_lo
	global_load_b128 v[12:15], v[0:1], off
	v_add_co_u32 v0, vcc_lo, v0, s4
	v_add_co_ci_u32_e32 v1, vcc_lo, s3, v1, vcc_lo
	global_load_b128 v[4:7], v170, s[8:9] offset:3456
	global_load_b128 v[16:19], v[0:1], off
	global_load_b128 v[8:11], v170, s[8:9] offset:1728
	v_add_co_u32 v0, vcc_lo, v0, s4
	v_add_co_ci_u32_e32 v1, vcc_lo, s3, v1, vcc_lo
	s_mov_b32 s9, 0xbfebb67a
	global_load_b128 v[24:27], v[0:1], off
	s_waitcnt vmcnt(5)
	scratch_store_b128 off, v[30:33], off   ; 16-byte Folded Spill
	s_waitcnt vmcnt(4)
	v_mul_f64 v[2:3], v[14:15], v[32:33]
	v_mul_f64 v[20:21], v[12:13], v[32:33]
	s_waitcnt vmcnt(2)
	v_mul_f64 v[22:23], v[18:19], v[6:7]
	v_mul_f64 v[28:29], v[16:17], v[6:7]
	s_delay_alu instid0(VALU_DEP_4)
	v_fma_f64 v[48:49], v[12:13], v[30:31], v[2:3]
	v_add_co_u32 v2, vcc_lo, 0x1000, v171
	v_add_co_ci_u32_e32 v3, vcc_lo, 0, v172, vcc_lo
	v_fma_f64 v[50:51], v[14:15], v[30:31], -v[20:21]
	v_fma_f64 v[53:54], v[16:17], v[4:5], v[22:23]
	s_clause 0x1
	global_load_b128 v[20:23], v[2:3], off offset:2816
	global_load_b128 v[12:15], v[2:3], off offset:1088
	v_add_co_u32 v0, vcc_lo, v0, s4
	v_add_co_ci_u32_e32 v1, vcc_lo, s3, v1, vcc_lo
	v_fma_f64 v[55:56], v[18:19], v[4:5], -v[28:29]
	s_waitcnt vmcnt(1)
	v_mul_f64 v[2:3], v[26:27], v[22:23]
	v_mul_f64 v[16:17], v[24:25], v[22:23]
	s_delay_alu instid0(VALU_DEP_2) | instskip(SKIP_2) | instid1(VALU_DEP_4)
	v_fma_f64 v[57:58], v[24:25], v[20:21], v[2:3]
	v_add_co_u32 v2, vcc_lo, 0x2000, v171
	v_add_co_ci_u32_e32 v3, vcc_lo, 0, v172, vcc_lo
	v_fma_f64 v[59:60], v[26:27], v[20:21], -v[16:17]
	global_load_b128 v[24:27], v[0:1], off
	s_clause 0x1
	global_load_b128 v[28:31], v[2:3], off offset:2176
	global_load_b128 v[16:19], v[2:3], off offset:448
	v_add_co_u32 v0, vcc_lo, v0, s4
	v_add_co_ci_u32_e32 v1, vcc_lo, s3, v1, vcc_lo
	s_waitcnt vmcnt(1)
	v_mul_f64 v[32:33], v[26:27], v[30:31]
	v_mul_f64 v[34:35], v[24:25], v[30:31]
	s_delay_alu instid0(VALU_DEP_2) | instskip(SKIP_2) | instid1(VALU_DEP_4)
	v_fma_f64 v[61:62], v[24:25], v[28:29], v[32:33]
	v_add_co_u32 v24, vcc_lo, 0x3000, v171
	v_add_co_ci_u32_e32 v25, vcc_lo, 0, v172, vcc_lo
	v_fma_f64 v[63:64], v[26:27], v[28:29], -v[34:35]
	s_clause 0x1
	global_load_b128 v[32:35], v[24:25], off offset:1536
	global_load_b128 v[24:27], v[24:25], off offset:3264
	global_load_b128 v[36:39], v[0:1], off
	v_add_co_u32 v0, vcc_lo, v0, s4
	v_add_co_ci_u32_e32 v1, vcc_lo, s3, v1, vcc_lo
	s_delay_alu instid0(VALU_DEP_1) | instskip(NEXT) | instid1(VALU_DEP_1)
	v_mad_u64_u32 v[77:78], null, 0xffffc340, s12, v[0:1]
	v_add_nc_u32_e32 v78, s2, v78
	s_waitcnt vmcnt(0)
	v_mul_f64 v[40:41], v[38:39], v[34:35]
	v_mul_f64 v[42:43], v[36:37], v[34:35]
	s_delay_alu instid0(VALU_DEP_2) | instskip(SKIP_2) | instid1(VALU_DEP_4)
	v_fma_f64 v[65:66], v[36:37], v[32:33], v[40:41]
	v_add_co_u32 v36, vcc_lo, 0x4000, v171
	v_add_co_ci_u32_e32 v37, vcc_lo, 0, v172, vcc_lo
	v_fma_f64 v[67:68], v[38:39], v[32:33], -v[42:43]
	s_clause 0x1
	global_load_b128 v[40:43], v[36:37], off offset:896
	global_load_b128 v[36:39], v[36:37], off offset:2624
	global_load_b128 v[44:47], v[0:1], off
	s_waitcnt vmcnt(0)
	v_mul_f64 v[69:70], v[46:47], v[42:43]
	v_mul_f64 v[71:72], v[44:45], v[42:43]
	s_delay_alu instid0(VALU_DEP_2) | instskip(NEXT) | instid1(VALU_DEP_2)
	v_fma_f64 v[69:70], v[44:45], v[40:41], v[69:70]
	v_fma_f64 v[71:72], v[46:47], v[40:41], -v[71:72]
	global_load_b128 v[44:47], v[77:78], off
	s_waitcnt vmcnt(0)
	v_mul_f64 v[0:1], v[46:47], v[10:11]
	v_mul_f64 v[75:76], v[44:45], v[10:11]
	s_delay_alu instid0(VALU_DEP_2) | instskip(SKIP_2) | instid1(VALU_DEP_4)
	v_fma_f64 v[73:74], v[44:45], v[8:9], v[0:1]
	v_add_co_u32 v0, vcc_lo, v77, s4
	v_add_co_ci_u32_e32 v1, vcc_lo, s3, v78, vcc_lo
	v_fma_f64 v[75:76], v[46:47], v[8:9], -v[75:76]
	global_load_b128 v[44:47], v[0:1], off
	v_add_co_u32 v0, vcc_lo, v0, s4
	v_add_co_ci_u32_e32 v1, vcc_lo, s3, v1, vcc_lo
	s_waitcnt vmcnt(0)
	v_mul_f64 v[77:78], v[46:47], v[14:15]
	v_mul_f64 v[79:80], v[44:45], v[14:15]
	s_delay_alu instid0(VALU_DEP_2) | instskip(NEXT) | instid1(VALU_DEP_2)
	v_fma_f64 v[77:78], v[44:45], v[12:13], v[77:78]
	v_fma_f64 v[79:80], v[46:47], v[12:13], -v[79:80]
	global_load_b128 v[44:47], v[0:1], off
	v_add_co_u32 v0, vcc_lo, v0, s4
	v_add_co_ci_u32_e32 v1, vcc_lo, s3, v1, vcc_lo
	s_waitcnt vmcnt(0)
	v_mul_f64 v[81:82], v[46:47], v[18:19]
	v_mul_f64 v[83:84], v[44:45], v[18:19]
	s_delay_alu instid0(VALU_DEP_2) | instskip(NEXT) | instid1(VALU_DEP_2)
	v_fma_f64 v[81:82], v[44:45], v[16:17], v[81:82]
	v_fma_f64 v[83:84], v[46:47], v[16:17], -v[83:84]
	global_load_b128 v[44:47], v[2:3], off offset:3904
	global_load_b128 v[85:88], v[0:1], off
	v_add_co_u32 v0, vcc_lo, v0, s4
	v_add_co_ci_u32_e32 v1, vcc_lo, s3, v1, vcc_lo
	s_waitcnt vmcnt(0)
	v_mul_f64 v[89:90], v[85:86], v[46:47]
	v_mul_f64 v[2:3], v[87:88], v[46:47]
	s_delay_alu instid0(VALU_DEP_2)
	v_fma_f64 v[87:88], v[87:88], v[44:45], -v[89:90]
	global_load_b128 v[89:92], v[0:1], off
	v_add_co_u32 v0, vcc_lo, v0, s4
	v_add_co_ci_u32_e32 v1, vcc_lo, s3, v1, vcc_lo
	v_fma_f64 v[85:86], v[85:86], v[44:45], v[2:3]
	s_mov_b32 s2, 0xe8584caa
	s_mov_b32 s3, 0x3febb67a
	;; [unrolled: 1-line block ×3, first 2 shown]
	s_waitcnt vmcnt(0)
	v_mul_f64 v[93:94], v[89:90], v[26:27]
	v_mul_f64 v[2:3], v[91:92], v[26:27]
	s_delay_alu instid0(VALU_DEP_2)
	v_fma_f64 v[91:92], v[91:92], v[24:25], -v[93:94]
	global_load_b128 v[93:96], v[0:1], off
	v_fma_f64 v[89:90], v[89:90], v[24:25], v[2:3]
	s_waitcnt vmcnt(0)
	v_mul_f64 v[0:1], v[95:96], v[38:39]
	v_mul_f64 v[2:3], v[93:94], v[38:39]
	s_delay_alu instid0(VALU_DEP_2) | instskip(NEXT) | instid1(VALU_DEP_2)
	v_fma_f64 v[93:94], v[93:94], v[36:37], v[0:1]
	v_fma_f64 v[95:96], v[95:96], v[36:37], -v[2:3]
	ds_store_b128 v170, v[48:51]
	ds_store_b128 v170, v[73:76] offset:1728
	ds_store_b128 v170, v[53:56] offset:3456
	ds_store_b128 v170, v[77:80] offset:5184
	ds_store_b128 v170, v[57:60] offset:6912
	ds_store_b128 v170, v[81:84] offset:8640
	ds_store_b128 v170, v[61:64] offset:10368
	ds_store_b128 v170, v[85:88] offset:12096
	ds_store_b128 v170, v[65:68] offset:13824
	ds_store_b128 v170, v[89:92] offset:15552
	ds_store_b128 v170, v[69:72] offset:17280
	ds_store_b128 v170, v[93:96] offset:19008
	s_load_b128 s[4:7], s[6:7], 0x0
	s_waitcnt lgkmcnt(0)
	s_waitcnt_vscnt null, 0x0
	s_barrier
	buffer_gl0_inv
	ds_load_b128 v[48:51], v170
	ds_load_b128 v[53:56], v170 offset:6912
	ds_load_b128 v[57:60], v170 offset:8640
	;; [unrolled: 1-line block ×5, first 2 shown]
	s_waitcnt lgkmcnt(4)
	v_add_f64 v[0:1], v[48:49], v[53:54]
	v_add_f64 v[2:3], v[50:51], v[55:56]
	s_waitcnt lgkmcnt(1)
	v_add_f64 v[89:90], v[53:54], v[65:66]
	v_add_f64 v[91:92], v[55:56], v[67:68]
	v_add_f64 v[93:94], v[55:56], -v[67:68]
	v_add_f64 v[95:96], v[53:54], -v[65:66]
	s_waitcnt lgkmcnt(0)
	v_add_f64 v[111:112], v[57:58], -v[69:70]
	v_add_f64 v[109:110], v[59:60], -v[71:72]
	v_add_f64 v[0:1], v[0:1], v[65:66]
	v_add_f64 v[2:3], v[2:3], v[67:68]
	ds_load_b128 v[53:56], v170 offset:3456
	ds_load_b128 v[65:68], v170 offset:10368
	;; [unrolled: 1-line block ×6, first 2 shown]
	s_waitcnt lgkmcnt(0)
	s_barrier
	buffer_gl0_inv
	v_add_f64 v[97:98], v[53:54], v[65:66]
	v_add_f64 v[99:100], v[55:56], v[67:68]
	;; [unrolled: 1-line block ×4, first 2 shown]
	v_add_f64 v[105:106], v[67:68], -v[83:84]
	v_add_f64 v[107:108], v[65:66], -v[81:82]
	;; [unrolled: 1-line block ×4, first 2 shown]
	v_add_f64 v[65:66], v[97:98], v[81:82]
	v_add_f64 v[67:68], v[99:100], v[83:84]
	;; [unrolled: 1-line block ×12, first 2 shown]
	v_fma_f64 v[85:86], v[101:102], -0.5, v[55:56]
	v_add_f64 v[81:82], v[75:76], v[87:88]
	v_add_f64 v[75:76], v[59:60], v[87:88]
	v_fma_f64 v[87:88], v[103:104], -0.5, v[53:54]
	v_add_f64 v[53:54], v[0:1], -v[65:66]
	v_add_f64 v[55:56], v[2:3], -v[67:68]
	v_fma_f64 v[103:104], v[83:84], -0.5, v[77:78]
	v_fma_f64 v[77:78], v[89:90], -0.5, v[48:49]
	v_add_f64 v[48:49], v[0:1], v[65:66]
	v_fma_f64 v[0:1], v[107:108], s[8:9], v[85:86]
	v_fma_f64 v[101:102], v[81:82], -0.5, v[79:80]
	v_fma_f64 v[79:80], v[91:92], -0.5, v[50:51]
	v_add_f64 v[50:51], v[2:3], v[67:68]
	v_fma_f64 v[2:3], v[105:106], s[2:3], v[87:88]
	v_fma_f64 v[89:90], v[97:98], -0.5, v[61:62]
	v_add_f64 v[57:58], v[69:70], v[73:74]
	v_add_f64 v[61:62], v[69:70], -v[73:74]
	v_fma_f64 v[91:92], v[99:100], -0.5, v[63:64]
	v_add_f64 v[59:60], v[71:72], v[75:76]
	v_add_f64 v[63:64], v[71:72], -v[75:76]
	v_mul_f64 v[65:66], v[0:1], s[2:3]
	v_fma_f64 v[71:72], v[95:96], s[8:9], v[79:80]
	v_fma_f64 v[79:80], v[95:96], s[2:3], v[79:80]
	;; [unrolled: 1-line block ×3, first 2 shown]
	s_delay_alu instid0(VALU_DEP_4) | instskip(SKIP_1) | instid1(VALU_DEP_1)
	v_fma_f64 v[69:70], v[2:3], 0.5, v[65:66]
	v_mul_f64 v[2:3], v[2:3], s[8:9]
	v_fma_f64 v[0:1], v[0:1], 0.5, v[2:3]
	v_fma_f64 v[2:3], v[93:94], s[2:3], v[77:78]
	v_fma_f64 v[77:78], v[93:94], s[8:9], v[77:78]
	;; [unrolled: 1-line block ×3, first 2 shown]
	s_delay_alu instid0(VALU_DEP_4)
	v_add_f64 v[67:68], v[71:72], v[0:1]
	v_add_f64 v[71:72], v[71:72], -v[0:1]
	v_fma_f64 v[0:1], v[105:106], s[8:9], v[87:88]
	v_add_f64 v[65:66], v[2:3], v[69:70]
	v_add_f64 v[69:70], v[2:3], -v[69:70]
	v_fma_f64 v[2:3], v[107:108], s[2:3], v[85:86]
	v_fma_f64 v[87:88], v[111:112], s[8:9], v[91:92]
	v_mul_f64 v[73:74], v[0:1], -0.5
	s_delay_alu instid0(VALU_DEP_1) | instskip(SKIP_1) | instid1(VALU_DEP_2)
	v_fma_f64 v[81:82], v[2:3], s[2:3], v[73:74]
	v_mul_f64 v[2:3], v[2:3], -0.5
	v_add_f64 v[73:74], v[77:78], v[81:82]
	s_delay_alu instid0(VALU_DEP_2) | instskip(SKIP_2) | instid1(VALU_DEP_3)
	v_fma_f64 v[0:1], v[0:1], s[8:9], v[2:3]
	v_add_f64 v[77:78], v[77:78], -v[81:82]
	v_fma_f64 v[2:3], v[113:114], s[2:3], v[103:104]
	v_add_f64 v[75:76], v[79:80], v[0:1]
	v_add_f64 v[79:80], v[79:80], -v[0:1]
	v_fma_f64 v[0:1], v[115:116], s[8:9], v[101:102]
	s_delay_alu instid0(VALU_DEP_1) | instskip(NEXT) | instid1(VALU_DEP_1)
	v_mul_f64 v[81:82], v[0:1], s[2:3]
	v_fma_f64 v[85:86], v[2:3], 0.5, v[81:82]
	v_mul_f64 v[2:3], v[2:3], s[8:9]
	s_delay_alu instid0(VALU_DEP_1) | instskip(SKIP_1) | instid1(VALU_DEP_2)
	v_fma_f64 v[0:1], v[0:1], 0.5, v[2:3]
	v_fma_f64 v[2:3], v[109:110], s[2:3], v[89:90]
	v_add_f64 v[83:84], v[87:88], v[0:1]
	v_add_f64 v[87:88], v[87:88], -v[0:1]
	v_fma_f64 v[0:1], v[113:114], s[8:9], v[103:104]
	s_delay_alu instid0(VALU_DEP_4) | instskip(SKIP_2) | instid1(VALU_DEP_4)
	v_add_f64 v[81:82], v[2:3], v[85:86]
	v_add_f64 v[85:86], v[2:3], -v[85:86]
	v_fma_f64 v[2:3], v[115:116], s[2:3], v[101:102]
	v_mul_f64 v[89:90], v[0:1], -0.5
	s_delay_alu instid0(VALU_DEP_1) | instskip(SKIP_1) | instid1(VALU_DEP_2)
	v_fma_f64 v[97:98], v[2:3], s[2:3], v[89:90]
	v_mul_f64 v[2:3], v[2:3], -0.5
	v_add_f64 v[89:90], v[93:94], v[97:98]
	s_delay_alu instid0(VALU_DEP_2) | instskip(SKIP_1) | instid1(VALU_DEP_2)
	v_fma_f64 v[0:1], v[0:1], s[8:9], v[2:3]
	v_add_f64 v[93:94], v[93:94], -v[97:98]
	v_add_f64 v[91:92], v[95:96], v[0:1]
	v_add_f64 v[95:96], v[95:96], -v[0:1]
	v_mul_lo_u16 v0, v52, 6
	s_delay_alu instid0(VALU_DEP_1) | instskip(NEXT) | instid1(VALU_DEP_1)
	v_and_b32_e32 v0, 0xffff, v0
	v_lshlrev_b32_e32 v174, 4, v0
	ds_store_b128 v174, v[48:51]
	ds_store_b128 v174, v[65:68] offset:16
	ds_store_b128 v174, v[53:56] offset:48
	;; [unrolled: 1-line block ×5, first 2 shown]
	v_add_co_u32 v53, null, 0x6c, v169
	v_and_b32_e32 v54, 0xff, v52
	s_delay_alu instid0(VALU_DEP_2) | instskip(NEXT) | instid1(VALU_DEP_1)
	v_mul_u32_u24_e32 v0, 6, v53
	v_lshlrev_b32_e32 v173, 4, v0
	s_delay_alu instid0(VALU_DEP_3)
	v_mul_lo_u16 v0, 0xab, v54
	ds_store_b128 v173, v[57:60]
	ds_store_b128 v173, v[81:84] offset:16
	ds_store_b128 v173, v[89:92] offset:32
	ds_store_b128 v173, v[61:64] offset:48
	ds_store_b128 v173, v[85:88] offset:64
	ds_store_b128 v173, v[93:96] offset:80
	v_lshrrev_b16 v81, 10, v0
	s_waitcnt lgkmcnt(0)
	s_barrier
	buffer_gl0_inv
	v_mul_lo_u16 v0, v81, 6
	s_delay_alu instid0(VALU_DEP_1) | instskip(NEXT) | instid1(VALU_DEP_1)
	v_sub_nc_u16 v0, v52, v0
	v_and_b32_e32 v80, 0xff, v0
	s_delay_alu instid0(VALU_DEP_1)
	v_mad_u64_u32 v[0:1], null, 0x50, v80, s[10:11]
	global_load_b128 v[48:51], v[0:1], off offset:32
	ds_load_b128 v[55:58], v170 offset:10368
	ds_load_b128 v[68:71], v170 offset:12096
	s_clause 0x1
	global_load_b128 v[60:63], v[0:1], off offset:48
	global_load_b128 v[84:87], v[0:1], off offset:64
	ds_load_b128 v[64:67], v170 offset:17280
	ds_load_b128 v[72:75], v170 offset:19008
	s_waitcnt vmcnt(2) lgkmcnt(3)
	v_mul_f64 v[2:3], v[57:58], v[50:51]
	s_waitcnt vmcnt(0) lgkmcnt(1)
	v_mul_f64 v[78:79], v[64:65], v[86:87]
	s_delay_alu instid0(VALU_DEP_2) | instskip(SKIP_1) | instid1(VALU_DEP_3)
	v_fma_f64 v[2:3], v[55:56], v[48:49], -v[2:3]
	v_mul_f64 v[55:56], v[55:56], v[50:51]
	v_fma_f64 v[114:115], v[66:67], v[84:85], v[78:79]
	v_mul_f64 v[66:67], v[66:67], v[86:87]
	s_delay_alu instid0(VALU_DEP_3) | instskip(SKIP_1) | instid1(VALU_DEP_3)
	v_fma_f64 v[112:113], v[57:58], v[48:49], v[55:56]
	v_and_b32_e32 v55, 0xff, v53
	v_fma_f64 v[116:117], v[64:65], v[84:85], -v[66:67]
	s_delay_alu instid0(VALU_DEP_2) | instskip(SKIP_1) | instid1(VALU_DEP_2)
	v_mul_lo_u16 v56, 0xab, v55
	v_mul_lo_u16 v55, v55, 57
	v_lshrrev_b16 v82, 10, v56
	s_delay_alu instid0(VALU_DEP_2) | instskip(NEXT) | instid1(VALU_DEP_2)
	v_lshrrev_b16 v55, 11, v55
	v_mul_lo_u16 v56, v82, 6
	s_delay_alu instid0(VALU_DEP_1) | instskip(NEXT) | instid1(VALU_DEP_1)
	v_sub_nc_u16 v56, v53, v56
	v_and_b32_e32 v83, 0xff, v56
	s_delay_alu instid0(VALU_DEP_1)
	v_mad_u64_u32 v[76:77], null, 0x50, v83, s[10:11]
	v_add_f64 v[160:161], v[112:113], -v[114:115]
	s_clause 0x2
	global_load_b128 v[56:59], v[76:77], off
	global_load_b128 v[88:91], v[76:77], off offset:32
	global_load_b128 v[64:67], v[76:77], off offset:16
	s_waitcnt vmcnt(1)
	v_mul_f64 v[78:79], v[70:71], v[90:91]
	s_delay_alu instid0(VALU_DEP_1) | instskip(SKIP_1) | instid1(VALU_DEP_1)
	v_fma_f64 v[128:129], v[68:69], v[88:89], -v[78:79]
	v_mul_f64 v[68:69], v[68:69], v[90:91]
	v_fma_f64 v[130:131], v[70:71], v[88:89], v[68:69]
	s_clause 0x1
	global_load_b128 v[96:99], v[76:77], off offset:64
	global_load_b128 v[68:71], v[76:77], off offset:48
	s_waitcnt vmcnt(1) lgkmcnt(0)
	v_mul_f64 v[76:77], v[72:73], v[98:99]
	s_delay_alu instid0(VALU_DEP_1) | instskip(SKIP_1) | instid1(VALU_DEP_1)
	v_fma_f64 v[132:133], v[74:75], v[96:97], v[76:77]
	v_mul_f64 v[74:75], v[74:75], v[98:99]
	v_fma_f64 v[134:135], v[72:73], v[96:97], -v[74:75]
	s_clause 0x1
	global_load_b128 v[72:75], v[0:1], off
	global_load_b128 v[76:79], v[0:1], off offset:16
	ds_load_b128 v[92:95], v170 offset:3456
	ds_load_b128 v[100:103], v170 offset:5184
	s_waitcnt vmcnt(1) lgkmcnt(1)
	v_mul_f64 v[0:1], v[94:95], v[74:75]
	s_delay_alu instid0(VALU_DEP_1) | instskip(SKIP_1) | instid1(VALU_DEP_1)
	v_fma_f64 v[0:1], v[92:93], v[72:73], -v[0:1]
	v_mul_f64 v[92:93], v[92:93], v[74:75]
	v_fma_f64 v[118:119], v[94:95], v[72:73], v[92:93]
	s_waitcnt lgkmcnt(0)
	v_mul_f64 v[92:93], v[102:103], v[58:59]
	s_delay_alu instid0(VALU_DEP_1) | instskip(SKIP_1) | instid1(VALU_DEP_1)
	v_fma_f64 v[136:137], v[100:101], v[56:57], -v[92:93]
	v_mul_f64 v[92:93], v[100:101], v[58:59]
	v_fma_f64 v[138:139], v[102:103], v[56:57], v[92:93]
	ds_load_b128 v[92:95], v170 offset:6912
	ds_load_b128 v[100:103], v170 offset:8640
	s_waitcnt vmcnt(0) lgkmcnt(1)
	v_mul_f64 v[104:105], v[94:95], v[78:79]
	s_delay_alu instid0(VALU_DEP_1) | instskip(SKIP_1) | instid1(VALU_DEP_1)
	v_fma_f64 v[120:121], v[92:93], v[76:77], -v[104:105]
	v_mul_f64 v[92:93], v[92:93], v[78:79]
	v_fma_f64 v[122:123], v[94:95], v[76:77], v[92:93]
	ds_load_b128 v[92:95], v170 offset:13824
	ds_load_b128 v[104:107], v170 offset:15552
	s_waitcnt lgkmcnt(1)
	v_mul_f64 v[108:109], v[94:95], v[62:63]
	s_delay_alu instid0(VALU_DEP_1) | instskip(SKIP_1) | instid1(VALU_DEP_1)
	v_fma_f64 v[124:125], v[92:93], v[60:61], -v[108:109]
	v_mul_f64 v[92:93], v[92:93], v[62:63]
	v_fma_f64 v[126:127], v[94:95], v[60:61], v[92:93]
	v_mul_f64 v[92:93], v[102:103], v[66:67]
	s_delay_alu instid0(VALU_DEP_1) | instskip(SKIP_1) | instid1(VALU_DEP_1)
	v_fma_f64 v[140:141], v[100:101], v[64:65], -v[92:93]
	v_mul_f64 v[92:93], v[100:101], v[66:67]
	v_fma_f64 v[142:143], v[102:103], v[64:65], v[92:93]
	s_waitcnt lgkmcnt(0)
	v_mul_f64 v[92:93], v[106:107], v[70:71]
	s_delay_alu instid0(VALU_DEP_1) | instskip(SKIP_2) | instid1(VALU_DEP_2)
	v_fma_f64 v[144:145], v[104:105], v[68:69], -v[92:93]
	v_mul_f64 v[92:93], v[104:105], v[70:71]
	v_add_f64 v[104:105], v[120:121], v[124:125]
	v_fma_f64 v[146:147], v[106:107], v[68:69], v[92:93]
	ds_load_b128 v[92:95], v170
	ds_load_b128 v[100:103], v170 offset:1728
	s_waitcnt lgkmcnt(0)
	s_barrier
	buffer_gl0_inv
	v_fma_f64 v[148:149], v[104:105], -0.5, v[92:93]
	v_add_f64 v[104:105], v[122:123], v[126:127]
	v_add_f64 v[92:93], v[92:93], v[120:121]
	v_add_f64 v[120:121], v[120:121], -v[124:125]
	s_delay_alu instid0(VALU_DEP_3) | instskip(NEXT) | instid1(VALU_DEP_3)
	v_fma_f64 v[150:151], v[104:105], -0.5, v[94:95]
	v_add_f64 v[104:105], v[92:93], v[124:125]
	v_add_f64 v[92:93], v[0:1], v[2:3]
	;; [unrolled: 1-line block ×3, first 2 shown]
	v_add_f64 v[122:123], v[122:123], -v[126:127]
	s_delay_alu instid0(VALU_DEP_3) | instskip(SKIP_1) | instid1(VALU_DEP_4)
	v_add_f64 v[108:109], v[92:93], v[116:117]
	v_add_f64 v[92:93], v[118:119], v[112:113]
	;; [unrolled: 1-line block ×3, first 2 shown]
	v_fma_f64 v[126:127], v[120:121], s[8:9], v[150:151]
	v_fma_f64 v[124:125], v[122:123], s[2:3], v[148:149]
	s_delay_alu instid0(VALU_DEP_4) | instskip(SKIP_3) | instid1(VALU_DEP_4)
	v_add_f64 v[110:111], v[92:93], v[114:115]
	v_add_f64 v[92:93], v[104:105], v[108:109]
	v_add_f64 v[104:105], v[104:105], -v[108:109]
	v_add_f64 v[108:109], v[140:141], v[144:145]
	v_add_f64 v[94:95], v[106:107], v[110:111]
	v_add_f64 v[106:107], v[106:107], -v[110:111]
	s_delay_alu instid0(VALU_DEP_3) | instskip(SKIP_3) | instid1(VALU_DEP_3)
	v_fma_f64 v[152:153], v[108:109], -0.5, v[100:101]
	v_add_f64 v[108:109], v[142:143], v[146:147]
	v_add_f64 v[100:101], v[100:101], v[140:141]
	v_add_f64 v[140:141], v[140:141], -v[144:145]
	v_fma_f64 v[154:155], v[108:109], -0.5, v[102:103]
	s_delay_alu instid0(VALU_DEP_3) | instskip(SKIP_4) | instid1(VALU_DEP_4)
	v_add_f64 v[108:109], v[100:101], v[144:145]
	v_add_f64 v[100:101], v[136:137], v[128:129]
	;; [unrolled: 1-line block ×3, first 2 shown]
	v_add_f64 v[142:143], v[142:143], -v[146:147]
	v_fma_f64 v[144:145], v[140:141], s[8:9], v[154:155]
	v_add_f64 v[156:157], v[100:101], v[134:135]
	v_add_f64 v[100:101], v[138:139], v[130:131]
	;; [unrolled: 1-line block ×3, first 2 shown]
	s_delay_alu instid0(VALU_DEP_2) | instskip(NEXT) | instid1(VALU_DEP_4)
	v_add_f64 v[158:159], v[100:101], v[132:133]
	v_add_f64 v[100:101], v[108:109], v[156:157]
	v_add_f64 v[108:109], v[108:109], -v[156:157]
	v_add_f64 v[156:157], v[2:3], v[116:117]
	v_add_f64 v[2:3], v[2:3], -v[116:117]
	v_add_f64 v[116:117], v[112:113], v[114:115]
	v_add_f64 v[102:103], v[110:111], v[158:159]
	v_add_f64 v[110:111], v[110:111], -v[158:159]
	v_fma_f64 v[0:1], v[156:157], -0.5, v[0:1]
	s_delay_alu instid0(VALU_DEP_4) | instskip(NEXT) | instid1(VALU_DEP_2)
	v_fma_f64 v[158:159], v[116:117], -0.5, v[118:119]
	v_fma_f64 v[114:115], v[160:161], s[2:3], v[0:1]
	v_fma_f64 v[0:1], v[160:161], s[8:9], v[0:1]
	s_delay_alu instid0(VALU_DEP_3) | instskip(SKIP_1) | instid1(VALU_DEP_2)
	v_fma_f64 v[112:113], v[2:3], s[8:9], v[158:159]
	v_fma_f64 v[2:3], v[2:3], s[2:3], v[158:159]
	v_mul_f64 v[116:117], v[112:113], s[2:3]
	s_delay_alu instid0(VALU_DEP_1) | instskip(SKIP_1) | instid1(VALU_DEP_1)
	v_fma_f64 v[116:117], v[114:115], 0.5, v[116:117]
	v_mul_f64 v[114:115], v[114:115], s[8:9]
	v_fma_f64 v[118:119], v[112:113], 0.5, v[114:115]
	s_delay_alu instid0(VALU_DEP_3) | instskip(SKIP_2) | instid1(VALU_DEP_4)
	v_add_f64 v[112:113], v[124:125], v[116:117]
	v_add_f64 v[116:117], v[124:125], -v[116:117]
	v_fma_f64 v[124:125], v[122:123], s[8:9], v[148:149]
	v_add_f64 v[114:115], v[126:127], v[118:119]
	v_add_f64 v[118:119], v[126:127], -v[118:119]
	v_fma_f64 v[126:127], v[120:121], s[2:3], v[150:151]
	v_mul_f64 v[120:121], v[0:1], -0.5
	s_delay_alu instid0(VALU_DEP_1) | instskip(SKIP_1) | instid1(VALU_DEP_2)
	v_fma_f64 v[148:149], v[2:3], s[2:3], v[120:121]
	v_mul_f64 v[2:3], v[2:3], -0.5
	v_add_f64 v[120:121], v[124:125], v[148:149]
	s_delay_alu instid0(VALU_DEP_2) | instskip(SKIP_3) | instid1(VALU_DEP_4)
	v_fma_f64 v[0:1], v[0:1], s[8:9], v[2:3]
	v_add_f64 v[2:3], v[128:129], -v[134:135]
	v_add_f64 v[124:125], v[124:125], -v[148:149]
	;; [unrolled: 1-line block ×3, first 2 shown]
	v_add_f64 v[122:123], v[126:127], v[0:1]
	v_add_f64 v[126:127], v[126:127], -v[0:1]
	v_add_f64 v[0:1], v[128:129], v[134:135]
	v_add_f64 v[128:129], v[130:131], v[132:133]
	s_delay_alu instid0(VALU_DEP_2) | instskip(NEXT) | instid1(VALU_DEP_2)
	v_fma_f64 v[0:1], v[0:1], -0.5, v[136:137]
	v_fma_f64 v[138:139], v[128:129], -0.5, v[138:139]
	v_fma_f64 v[136:137], v[142:143], s[2:3], v[152:153]
	v_fma_f64 v[142:143], v[142:143], s[8:9], v[152:153]
	s_delay_alu instid0(VALU_DEP_4) | instskip(NEXT) | instid1(VALU_DEP_4)
	v_fma_f64 v[130:131], v[148:149], s[2:3], v[0:1]
	v_fma_f64 v[128:129], v[2:3], s[8:9], v[138:139]
	;; [unrolled: 1-line block ×4, first 2 shown]
	s_delay_alu instid0(VALU_DEP_3) | instskip(NEXT) | instid1(VALU_DEP_1)
	v_mul_f64 v[132:133], v[128:129], s[2:3]
	v_fma_f64 v[132:133], v[130:131], 0.5, v[132:133]
	v_mul_f64 v[130:131], v[130:131], s[8:9]
	s_delay_alu instid0(VALU_DEP_1) | instskip(NEXT) | instid1(VALU_DEP_3)
	v_fma_f64 v[134:135], v[128:129], 0.5, v[130:131]
	v_add_f64 v[128:129], v[136:137], v[132:133]
	v_add_f64 v[132:133], v[136:137], -v[132:133]
	v_mul_f64 v[136:137], v[0:1], -0.5
	s_delay_alu instid0(VALU_DEP_4) | instskip(SKIP_2) | instid1(VALU_DEP_4)
	v_add_f64 v[130:131], v[144:145], v[134:135]
	v_add_f64 v[134:135], v[144:145], -v[134:135]
	v_fma_f64 v[144:145], v[140:141], s[2:3], v[154:155]
	v_fma_f64 v[140:141], v[2:3], s[2:3], v[136:137]
	v_mul_f64 v[2:3], v[2:3], -0.5
	s_delay_alu instid0(VALU_DEP_2) | instskip(NEXT) | instid1(VALU_DEP_2)
	v_add_f64 v[136:137], v[142:143], v[140:141]
	v_fma_f64 v[0:1], v[0:1], s[8:9], v[2:3]
	v_add_f64 v[140:141], v[142:143], -v[140:141]
	s_delay_alu instid0(VALU_DEP_2) | instskip(SKIP_2) | instid1(VALU_DEP_1)
	v_add_f64 v[138:139], v[144:145], v[0:1]
	v_add_f64 v[142:143], v[144:145], -v[0:1]
	v_and_b32_e32 v0, 0xffff, v81
	v_mul_u32_u24_e32 v0, 36, v0
	s_delay_alu instid0(VALU_DEP_1)
	v_add_lshl_u32 v176, v0, v80, 4
	v_and_b32_e32 v0, 0xffff, v82
	ds_store_b128 v176, v[92:95]
	ds_store_b128 v176, v[112:115] offset:96
	ds_store_b128 v176, v[104:107] offset:288
	;; [unrolled: 1-line block ×5, first 2 shown]
	v_mul_u32_u24_e32 v0, 36, v0
	s_delay_alu instid0(VALU_DEP_1)
	v_add_lshl_u32 v175, v0, v83, 4
	v_mul_lo_u16 v0, v54, 57
	ds_store_b128 v175, v[100:103]
	ds_store_b128 v175, v[128:131] offset:96
	ds_store_b128 v175, v[136:139] offset:192
	ds_store_b128 v175, v[108:111] offset:288
	ds_store_b128 v175, v[132:135] offset:384
	ds_store_b128 v175, v[140:143] offset:480
	v_lshrrev_b16 v54, 11, v0
	s_waitcnt lgkmcnt(0)
	s_barrier
	buffer_gl0_inv
	v_mul_lo_u16 v0, v54, 36
	s_delay_alu instid0(VALU_DEP_1) | instskip(NEXT) | instid1(VALU_DEP_1)
	v_sub_nc_u16 v0, v52, v0
	v_and_b32_e32 v52, 0xff, v0
	s_delay_alu instid0(VALU_DEP_1)
	v_mad_u64_u32 v[0:1], null, 0x50, v52, s[10:11]
	global_load_b128 v[80:83], v[0:1], off offset:512
	ds_load_b128 v[92:95], v170 offset:10368
	ds_load_b128 v[112:115], v170 offset:12096
	s_clause 0x1
	global_load_b128 v[104:107], v[0:1], off offset:528
	global_load_b128 v[140:143], v[0:1], off offset:544
	s_waitcnt vmcnt(2) lgkmcnt(1)
	v_mul_f64 v[2:3], v[94:95], v[82:83]
	s_delay_alu instid0(VALU_DEP_1) | instskip(SKIP_1) | instid1(VALU_DEP_1)
	v_fma_f64 v[2:3], v[92:93], v[80:81], -v[2:3]
	v_mul_f64 v[92:93], v[92:93], v[82:83]
	v_fma_f64 v[136:137], v[94:95], v[80:81], v[92:93]
	v_mul_lo_u16 v92, v55, 36
	s_delay_alu instid0(VALU_DEP_1) | instskip(SKIP_3) | instid1(VALU_DEP_1)
	v_sub_nc_u16 v53, v53, v92
	ds_load_b128 v[92:95], v170 offset:17280
	ds_load_b128 v[116:119], v170 offset:19008
	v_and_b32_e32 v53, 0xff, v53
	v_mad_u64_u32 v[120:121], null, 0x50, v53, s[10:11]
	global_load_b128 v[100:103], v[120:121], off offset:480
	s_waitcnt vmcnt(1) lgkmcnt(1)
	v_mul_f64 v[108:109], v[92:93], v[142:143]
	s_delay_alu instid0(VALU_DEP_1)
	v_fma_f64 v[138:139], v[94:95], v[140:141], v[108:109]
	s_clause 0x1
	global_load_b128 v[144:147], v[120:121], off offset:512
	global_load_b128 v[108:111], v[120:121], off offset:496
	v_mul_f64 v[94:95], v[94:95], v[142:143]
	v_add_f64 v[205:206], v[136:137], -v[138:139]
	s_delay_alu instid0(VALU_DEP_2) | instskip(SKIP_2) | instid1(VALU_DEP_1)
	v_fma_f64 v[152:153], v[92:93], v[140:141], -v[94:95]
	s_waitcnt vmcnt(1)
	v_mul_f64 v[92:93], v[114:115], v[146:147]
	v_fma_f64 v[164:165], v[112:113], v[144:145], -v[92:93]
	v_mul_f64 v[92:93], v[112:113], v[146:147]
	s_delay_alu instid0(VALU_DEP_1)
	v_fma_f64 v[166:167], v[114:115], v[144:145], v[92:93]
	s_clause 0x1
	global_load_b128 v[148:151], v[120:121], off offset:544
	global_load_b128 v[112:115], v[120:121], off offset:528
	s_waitcnt vmcnt(1) lgkmcnt(0)
	v_mul_f64 v[92:93], v[116:117], v[150:151]
	s_delay_alu instid0(VALU_DEP_1) | instskip(SKIP_1) | instid1(VALU_DEP_1)
	v_fma_f64 v[177:178], v[118:119], v[148:149], v[92:93]
	v_mul_f64 v[92:93], v[118:119], v[150:151]
	v_fma_f64 v[179:180], v[116:117], v[148:149], -v[92:93]
	s_clause 0x1
	global_load_b128 v[116:119], v[0:1], off offset:480
	global_load_b128 v[128:131], v[0:1], off offset:496
	ds_load_b128 v[92:95], v170 offset:3456
	ds_load_b128 v[120:123], v170 offset:5184
	s_waitcnt vmcnt(1) lgkmcnt(1)
	v_mul_f64 v[0:1], v[94:95], v[118:119]
	s_delay_alu instid0(VALU_DEP_1) | instskip(SKIP_1) | instid1(VALU_DEP_1)
	v_fma_f64 v[0:1], v[92:93], v[116:117], -v[0:1]
	v_mul_f64 v[92:93], v[92:93], v[118:119]
	v_fma_f64 v[154:155], v[94:95], v[116:117], v[92:93]
	s_waitcnt lgkmcnt(0)
	v_mul_f64 v[92:93], v[122:123], v[102:103]
	s_delay_alu instid0(VALU_DEP_1) | instskip(SKIP_1) | instid1(VALU_DEP_1)
	v_fma_f64 v[181:182], v[120:121], v[100:101], -v[92:93]
	v_mul_f64 v[92:93], v[120:121], v[102:103]
	v_fma_f64 v[183:184], v[122:123], v[100:101], v[92:93]
	ds_load_b128 v[92:95], v170 offset:6912
	ds_load_b128 v[120:123], v170 offset:8640
	s_waitcnt vmcnt(0) lgkmcnt(1)
	v_mul_f64 v[124:125], v[94:95], v[130:131]
	s_delay_alu instid0(VALU_DEP_1) | instskip(SKIP_1) | instid1(VALU_DEP_1)
	v_fma_f64 v[156:157], v[92:93], v[128:129], -v[124:125]
	v_mul_f64 v[92:93], v[92:93], v[130:131]
	v_fma_f64 v[158:159], v[94:95], v[128:129], v[92:93]
	ds_load_b128 v[92:95], v170 offset:13824
	ds_load_b128 v[124:127], v170 offset:15552
	s_waitcnt lgkmcnt(1)
	v_mul_f64 v[132:133], v[94:95], v[106:107]
	s_delay_alu instid0(VALU_DEP_1) | instskip(SKIP_1) | instid1(VALU_DEP_1)
	v_fma_f64 v[160:161], v[92:93], v[104:105], -v[132:133]
	v_mul_f64 v[92:93], v[92:93], v[106:107]
	v_fma_f64 v[162:163], v[94:95], v[104:105], v[92:93]
	v_mul_f64 v[92:93], v[122:123], v[110:111]
	s_delay_alu instid0(VALU_DEP_1) | instskip(SKIP_1) | instid1(VALU_DEP_1)
	v_fma_f64 v[185:186], v[120:121], v[108:109], -v[92:93]
	v_mul_f64 v[92:93], v[120:121], v[110:111]
	v_fma_f64 v[187:188], v[122:123], v[108:109], v[92:93]
	s_waitcnt lgkmcnt(0)
	v_mul_f64 v[92:93], v[126:127], v[114:115]
	s_delay_alu instid0(VALU_DEP_1) | instskip(SKIP_2) | instid1(VALU_DEP_2)
	v_fma_f64 v[189:190], v[124:125], v[112:113], -v[92:93]
	v_mul_f64 v[92:93], v[124:125], v[114:115]
	v_add_f64 v[124:125], v[156:157], v[160:161]
	v_fma_f64 v[191:192], v[126:127], v[112:113], v[92:93]
	ds_load_b128 v[92:95], v170
	ds_load_b128 v[120:123], v170 offset:1728
	s_waitcnt lgkmcnt(0)
	s_barrier
	buffer_gl0_inv
	v_fma_f64 v[193:194], v[124:125], -0.5, v[92:93]
	v_add_f64 v[124:125], v[158:159], v[162:163]
	v_add_f64 v[92:93], v[92:93], v[156:157]
	v_add_f64 v[156:157], v[156:157], -v[160:161]
	s_delay_alu instid0(VALU_DEP_3) | instskip(NEXT) | instid1(VALU_DEP_3)
	v_fma_f64 v[195:196], v[124:125], -0.5, v[94:95]
	v_add_f64 v[124:125], v[92:93], v[160:161]
	v_add_f64 v[92:93], v[0:1], v[2:3]
	;; [unrolled: 1-line block ×3, first 2 shown]
	v_add_f64 v[158:159], v[158:159], -v[162:163]
	s_delay_alu instid0(VALU_DEP_3) | instskip(SKIP_1) | instid1(VALU_DEP_4)
	v_add_f64 v[132:133], v[92:93], v[152:153]
	v_add_f64 v[92:93], v[154:155], v[136:137]
	;; [unrolled: 1-line block ×3, first 2 shown]
	v_fma_f64 v[162:163], v[156:157], s[8:9], v[195:196]
	v_fma_f64 v[160:161], v[158:159], s[2:3], v[193:194]
	s_delay_alu instid0(VALU_DEP_4) | instskip(SKIP_3) | instid1(VALU_DEP_4)
	v_add_f64 v[134:135], v[92:93], v[138:139]
	v_add_f64 v[92:93], v[124:125], v[132:133]
	v_add_f64 v[124:125], v[124:125], -v[132:133]
	v_add_f64 v[132:133], v[185:186], v[189:190]
	v_add_f64 v[94:95], v[126:127], v[134:135]
	v_add_f64 v[126:127], v[126:127], -v[134:135]
	s_delay_alu instid0(VALU_DEP_3) | instskip(SKIP_3) | instid1(VALU_DEP_3)
	v_fma_f64 v[197:198], v[132:133], -0.5, v[120:121]
	v_add_f64 v[132:133], v[187:188], v[191:192]
	v_add_f64 v[120:121], v[120:121], v[185:186]
	v_add_f64 v[185:186], v[185:186], -v[189:190]
	v_fma_f64 v[199:200], v[132:133], -0.5, v[122:123]
	s_delay_alu instid0(VALU_DEP_3) | instskip(SKIP_3) | instid1(VALU_DEP_3)
	v_add_f64 v[132:133], v[120:121], v[189:190]
	v_add_f64 v[120:121], v[181:182], v[164:165]
	;; [unrolled: 1-line block ×3, first 2 shown]
	v_add_f64 v[187:188], v[187:188], -v[191:192]
	v_add_f64 v[201:202], v[120:121], v[179:180]
	v_add_f64 v[120:121], v[183:184], v[166:167]
	s_delay_alu instid0(VALU_DEP_4) | instskip(NEXT) | instid1(VALU_DEP_4)
	v_add_f64 v[134:135], v[122:123], v[191:192]
	v_fma_f64 v[189:190], v[187:188], s[2:3], v[197:198]
	v_fma_f64 v[191:192], v[185:186], s[8:9], v[199:200]
	s_delay_alu instid0(VALU_DEP_4)
	v_add_f64 v[203:204], v[120:121], v[177:178]
	v_add_f64 v[120:121], v[132:133], v[201:202]
	v_add_f64 v[132:133], v[132:133], -v[201:202]
	v_add_f64 v[201:202], v[2:3], v[152:153]
	v_add_f64 v[2:3], v[2:3], -v[152:153]
	v_add_f64 v[152:153], v[136:137], v[138:139]
	v_add_f64 v[122:123], v[134:135], v[203:204]
	v_add_f64 v[134:135], v[134:135], -v[203:204]
	v_fma_f64 v[0:1], v[201:202], -0.5, v[0:1]
	s_delay_alu instid0(VALU_DEP_4) | instskip(NEXT) | instid1(VALU_DEP_2)
	v_fma_f64 v[203:204], v[152:153], -0.5, v[154:155]
	v_fma_f64 v[138:139], v[205:206], s[2:3], v[0:1]
	v_fma_f64 v[0:1], v[205:206], s[8:9], v[0:1]
	s_delay_alu instid0(VALU_DEP_3) | instskip(SKIP_1) | instid1(VALU_DEP_2)
	v_fma_f64 v[136:137], v[2:3], s[8:9], v[203:204]
	v_fma_f64 v[2:3], v[2:3], s[2:3], v[203:204]
	v_mul_f64 v[152:153], v[136:137], s[2:3]
	s_delay_alu instid0(VALU_DEP_1) | instskip(SKIP_1) | instid1(VALU_DEP_1)
	v_fma_f64 v[152:153], v[138:139], 0.5, v[152:153]
	v_mul_f64 v[138:139], v[138:139], s[8:9]
	v_fma_f64 v[154:155], v[136:137], 0.5, v[138:139]
	s_delay_alu instid0(VALU_DEP_3) | instskip(SKIP_2) | instid1(VALU_DEP_4)
	v_add_f64 v[136:137], v[160:161], v[152:153]
	v_add_f64 v[152:153], v[160:161], -v[152:153]
	v_fma_f64 v[160:161], v[158:159], s[8:9], v[193:194]
	v_add_f64 v[138:139], v[162:163], v[154:155]
	v_add_f64 v[154:155], v[162:163], -v[154:155]
	v_fma_f64 v[162:163], v[156:157], s[2:3], v[195:196]
	v_mul_f64 v[156:157], v[0:1], -0.5
	s_delay_alu instid0(VALU_DEP_1) | instskip(SKIP_1) | instid1(VALU_DEP_2)
	v_fma_f64 v[193:194], v[2:3], s[2:3], v[156:157]
	v_mul_f64 v[2:3], v[2:3], -0.5
	v_add_f64 v[156:157], v[160:161], v[193:194]
	s_delay_alu instid0(VALU_DEP_2) | instskip(SKIP_2) | instid1(VALU_DEP_3)
	v_fma_f64 v[0:1], v[0:1], s[8:9], v[2:3]
	v_add_f64 v[2:3], v[164:165], -v[179:180]
	v_add_f64 v[160:161], v[160:161], -v[193:194]
	v_add_f64 v[158:159], v[162:163], v[0:1]
	v_add_f64 v[162:163], v[162:163], -v[0:1]
	v_add_f64 v[0:1], v[164:165], v[179:180]
	v_add_f64 v[164:165], v[166:167], v[177:178]
	v_add_f64 v[177:178], v[166:167], -v[177:178]
	s_delay_alu instid0(VALU_DEP_3) | instskip(NEXT) | instid1(VALU_DEP_3)
	v_fma_f64 v[0:1], v[0:1], -0.5, v[181:182]
	v_fma_f64 v[183:184], v[164:165], -0.5, v[183:184]
	s_delay_alu instid0(VALU_DEP_2) | instskip(NEXT) | instid1(VALU_DEP_2)
	v_fma_f64 v[166:167], v[177:178], s[2:3], v[0:1]
	v_fma_f64 v[164:165], v[2:3], s[8:9], v[183:184]
	;; [unrolled: 1-line block ×5, first 2 shown]
	s_delay_alu instid0(VALU_DEP_4) | instskip(NEXT) | instid1(VALU_DEP_4)
	v_mul_f64 v[179:180], v[164:165], s[2:3]
	v_mul_f64 v[183:184], v[0:1], -0.5
	s_delay_alu instid0(VALU_DEP_2) | instskip(SKIP_1) | instid1(VALU_DEP_3)
	v_fma_f64 v[179:180], v[166:167], 0.5, v[179:180]
	v_mul_f64 v[166:167], v[166:167], s[8:9]
	v_fma_f64 v[187:188], v[2:3], s[2:3], v[183:184]
	v_mul_f64 v[2:3], v[2:3], -0.5
	s_delay_alu instid0(VALU_DEP_3)
	v_fma_f64 v[181:182], v[164:165], 0.5, v[166:167]
	v_add_f64 v[164:165], v[189:190], v[179:180]
	v_add_f64 v[179:180], v[189:190], -v[179:180]
	v_fma_f64 v[189:190], v[185:186], s[2:3], v[199:200]
	v_fma_f64 v[0:1], v[0:1], s[8:9], v[2:3]
	v_add_f64 v[183:184], v[177:178], v[187:188]
	v_add_f64 v[187:188], v[177:178], -v[187:188]
	v_add_f64 v[166:167], v[191:192], v[181:182]
	v_add_f64 v[181:182], v[191:192], -v[181:182]
	;; [unrolled: 2-line block ×3, first 2 shown]
	v_and_b32_e32 v0, 0xffff, v54
	s_delay_alu instid0(VALU_DEP_1) | instskip(NEXT) | instid1(VALU_DEP_1)
	v_mul_u32_u24_e32 v0, 0xd8, v0
	v_add_lshl_u32 v178, v0, v52, 4
	v_and_b32_e32 v0, 0xffff, v55
	ds_store_b128 v178, v[92:95]
	ds_store_b128 v178, v[136:139] offset:576
	ds_store_b128 v178, v[124:127] offset:1728
	;; [unrolled: 1-line block ×5, first 2 shown]
	v_mul_u32_u24_e32 v0, 0xd8, v0
	s_delay_alu instid0(VALU_DEP_1)
	v_add_lshl_u32 v177, v0, v53, 4
	v_mad_u64_u32 v[0:1], null, 0x50, v169, s[10:11]
	ds_store_b128 v177, v[120:123]
	ds_store_b128 v177, v[164:167] offset:576
	ds_store_b128 v177, v[183:186] offset:1152
	ds_store_b128 v177, v[132:135] offset:1728
	ds_store_b128 v177, v[179:182] offset:2304
	ds_store_b128 v177, v[187:190] offset:2880
	s_waitcnt lgkmcnt(0)
	s_barrier
	buffer_gl0_inv
	s_clause 0x1
	global_load_b128 v[52:55], v[0:1], off offset:3360
	global_load_b128 v[92:95], v[0:1], off offset:3376
	ds_load_b128 v[120:123], v170 offset:3456
	ds_load_b128 v[179:182], v170 offset:5184
	v_add_co_u32 v164, vcc_lo, 0x21c0, v0
	v_add_co_ci_u32_e32 v165, vcc_lo, 0, v1, vcc_lo
	s_waitcnt vmcnt(1) lgkmcnt(1)
	v_mul_f64 v[2:3], v[122:123], v[54:55]
	s_delay_alu instid0(VALU_DEP_1) | instskip(SKIP_1) | instid1(VALU_DEP_1)
	v_fma_f64 v[2:3], v[120:121], v[52:53], -v[2:3]
	v_mul_f64 v[120:121], v[120:121], v[54:55]
	v_fma_f64 v[195:196], v[122:123], v[52:53], v[120:121]
	ds_load_b128 v[120:123], v170 offset:6912
	ds_load_b128 v[136:139], v170 offset:8640
	s_waitcnt vmcnt(0) lgkmcnt(1)
	v_mul_f64 v[124:125], v[122:123], v[94:95]
	s_delay_alu instid0(VALU_DEP_1) | instskip(SKIP_1) | instid1(VALU_DEP_1)
	v_fma_f64 v[197:198], v[120:121], v[92:93], -v[124:125]
	v_mul_f64 v[120:121], v[120:121], v[94:95]
	v_fma_f64 v[199:200], v[122:123], v[92:93], v[120:121]
	s_clause 0x1
	global_load_b128 v[120:123], v[0:1], off offset:3408
	global_load_b128 v[156:159], v[0:1], off offset:3392
	ds_load_b128 v[124:127], v170 offset:13824
	ds_load_b128 v[183:186], v170 offset:15552
	s_waitcnt vmcnt(1) lgkmcnt(1)
	v_mul_f64 v[132:133], v[126:127], v[122:123]
	s_delay_alu instid0(VALU_DEP_1) | instskip(SKIP_1) | instid1(VALU_DEP_1)
	v_fma_f64 v[201:202], v[124:125], v[120:121], -v[132:133]
	v_mul_f64 v[124:125], v[124:125], v[122:123]
	v_fma_f64 v[203:204], v[126:127], v[120:121], v[124:125]
	ds_load_b128 v[124:127], v170 offset:10368
	ds_load_b128 v[187:190], v170 offset:12096
	global_load_b128 v[152:155], v[0:1], off offset:3424
	ds_load_b128 v[191:194], v170 offset:19008
	s_waitcnt vmcnt(1) lgkmcnt(2)
	v_mul_f64 v[132:133], v[126:127], v[158:159]
	s_delay_alu instid0(VALU_DEP_1)
	v_fma_f64 v[205:206], v[124:125], v[156:157], -v[132:133]
	v_mul_f64 v[124:125], v[124:125], v[158:159]
	ds_load_b128 v[132:135], v170 offset:17280
	v_fma_f64 v[207:208], v[126:127], v[156:157], v[124:125]
	global_load_b128 v[124:127], v[164:165], off offset:3360
	s_waitcnt vmcnt(1) lgkmcnt(0)
	v_mul_f64 v[0:1], v[134:135], v[154:155]
	s_delay_alu instid0(VALU_DEP_1) | instskip(SKIP_1) | instid1(VALU_DEP_1)
	v_fma_f64 v[0:1], v[132:133], v[152:153], -v[0:1]
	v_mul_f64 v[132:133], v[132:133], v[154:155]
	v_fma_f64 v[209:210], v[134:135], v[152:153], v[132:133]
	s_clause 0x1
	global_load_b128 v[132:135], v[164:165], off offset:3376
	global_load_b128 v[160:163], v[164:165], off offset:3392
	s_waitcnt vmcnt(1)
	v_mul_f64 v[166:167], v[138:139], v[134:135]
	s_delay_alu instid0(VALU_DEP_1) | instskip(SKIP_1) | instid1(VALU_DEP_1)
	v_fma_f64 v[211:212], v[136:137], v[132:133], -v[166:167]
	v_mul_f64 v[136:137], v[136:137], v[134:135]
	v_fma_f64 v[213:214], v[138:139], v[132:133], v[136:137]
	s_clause 0x1
	global_load_b128 v[136:139], v[164:165], off offset:3408
	global_load_b128 v[164:167], v[164:165], off offset:3424
	s_waitcnt vmcnt(1)
	v_mul_f64 v[215:216], v[185:186], v[138:139]
	s_delay_alu instid0(VALU_DEP_1) | instskip(SKIP_1) | instid1(VALU_DEP_1)
	v_fma_f64 v[215:216], v[183:184], v[136:137], -v[215:216]
	v_mul_f64 v[183:184], v[183:184], v[138:139]
	v_fma_f64 v[217:218], v[185:186], v[136:137], v[183:184]
	v_mul_f64 v[183:184], v[181:182], v[126:127]
	s_delay_alu instid0(VALU_DEP_1) | instskip(SKIP_1) | instid1(VALU_DEP_1)
	v_fma_f64 v[219:220], v[179:180], v[124:125], -v[183:184]
	v_mul_f64 v[179:180], v[179:180], v[126:127]
	v_fma_f64 v[221:222], v[181:182], v[124:125], v[179:180]
	v_mul_f64 v[179:180], v[189:190], v[162:163]
	s_delay_alu instid0(VALU_DEP_1) | instskip(SKIP_2) | instid1(VALU_DEP_2)
	v_fma_f64 v[223:224], v[187:188], v[160:161], -v[179:180]
	v_mul_f64 v[179:180], v[187:188], v[162:163]
	v_add_f64 v[187:188], v[197:198], v[201:202]
	v_fma_f64 v[225:226], v[189:190], v[160:161], v[179:180]
	s_waitcnt vmcnt(0)
	v_mul_f64 v[179:180], v[193:194], v[166:167]
	s_delay_alu instid0(VALU_DEP_1) | instskip(SKIP_1) | instid1(VALU_DEP_1)
	v_fma_f64 v[227:228], v[191:192], v[164:165], -v[179:180]
	v_mul_f64 v[179:180], v[191:192], v[166:167]
	v_fma_f64 v[229:230], v[193:194], v[164:165], v[179:180]
	ds_load_b128 v[179:182], v170
	ds_load_b128 v[183:186], v170 offset:1728
	s_waitcnt lgkmcnt(1)
	v_fma_f64 v[231:232], v[187:188], -0.5, v[179:180]
	v_add_f64 v[187:188], v[199:200], v[203:204]
	v_add_f64 v[179:180], v[179:180], v[197:198]
	s_delay_alu instid0(VALU_DEP_2) | instskip(NEXT) | instid1(VALU_DEP_2)
	v_fma_f64 v[233:234], v[187:188], -0.5, v[181:182]
	v_add_f64 v[187:188], v[179:180], v[201:202]
	v_add_f64 v[179:180], v[2:3], v[205:206]
	;; [unrolled: 1-line block ×3, first 2 shown]
	s_delay_alu instid0(VALU_DEP_2) | instskip(SKIP_1) | instid1(VALU_DEP_3)
	v_add_f64 v[191:192], v[179:180], v[0:1]
	v_add_f64 v[179:180], v[195:196], v[207:208]
	;; [unrolled: 1-line block ×3, first 2 shown]
	v_add_f64 v[203:204], v[199:200], -v[203:204]
	s_delay_alu instid0(VALU_DEP_3) | instskip(SKIP_3) | instid1(VALU_DEP_4)
	v_add_f64 v[193:194], v[179:180], v[209:210]
	v_add_f64 v[179:180], v[187:188], v[191:192]
	v_add_f64 v[187:188], v[187:188], -v[191:192]
	v_add_f64 v[191:192], v[211:212], v[215:216]
	v_add_f64 v[181:182], v[189:190], v[193:194]
	v_add_f64 v[189:190], v[189:190], -v[193:194]
	s_waitcnt lgkmcnt(0)
	s_delay_alu instid0(VALU_DEP_3) | instskip(SKIP_2) | instid1(VALU_DEP_2)
	v_fma_f64 v[235:236], v[191:192], -0.5, v[183:184]
	v_add_f64 v[191:192], v[213:214], v[217:218]
	v_add_f64 v[183:184], v[183:184], v[211:212]
	v_fma_f64 v[237:238], v[191:192], -0.5, v[185:186]
	s_delay_alu instid0(VALU_DEP_2) | instskip(SKIP_2) | instid1(VALU_DEP_2)
	v_add_f64 v[191:192], v[183:184], v[215:216]
	v_add_f64 v[183:184], v[219:220], v[223:224]
	v_add_f64 v[185:186], v[185:186], v[213:214]
	v_add_f64 v[239:240], v[183:184], v[227:228]
	v_add_f64 v[183:184], v[221:222], v[225:226]
	s_delay_alu instid0(VALU_DEP_3) | instskip(NEXT) | instid1(VALU_DEP_2)
	v_add_f64 v[193:194], v[185:186], v[217:218]
	v_add_f64 v[241:242], v[183:184], v[229:230]
	s_delay_alu instid0(VALU_DEP_4)
	v_add_f64 v[183:184], v[191:192], v[239:240]
	v_add_f64 v[191:192], v[191:192], -v[239:240]
	v_add_f64 v[239:240], v[205:206], v[0:1]
	v_add_f64 v[0:1], v[205:206], -v[0:1]
	;; [unrolled: 2-line block ×3, first 2 shown]
	v_fma_f64 v[209:210], v[203:204], s[2:3], v[231:232]
	v_add_f64 v[185:186], v[193:194], v[241:242]
	v_add_f64 v[193:194], v[193:194], -v[241:242]
	v_add_f64 v[241:242], v[197:198], -v[201:202]
	v_fma_f64 v[2:3], v[239:240], -0.5, v[2:3]
	v_fma_f64 v[205:206], v[205:206], -0.5, v[195:196]
	s_delay_alu instid0(VALU_DEP_3) | instskip(NEXT) | instid1(VALU_DEP_3)
	v_fma_f64 v[239:240], v[241:242], s[8:9], v[233:234]
	v_fma_f64 v[197:198], v[207:208], s[2:3], v[2:3]
	;; [unrolled: 1-line block ×3, first 2 shown]
	s_delay_alu instid0(VALU_DEP_4) | instskip(SKIP_2) | instid1(VALU_DEP_4)
	v_fma_f64 v[195:196], v[0:1], s[8:9], v[205:206]
	v_fma_f64 v[0:1], v[0:1], s[2:3], v[205:206]
	;; [unrolled: 1-line block ×3, first 2 shown]
	v_mul_f64 v[203:204], v[2:3], -0.5
	s_delay_alu instid0(VALU_DEP_4) | instskip(NEXT) | instid1(VALU_DEP_2)
	v_mul_f64 v[199:200], v[195:196], s[2:3]
	v_fma_f64 v[231:232], v[0:1], s[2:3], v[203:204]
	s_delay_alu instid0(VALU_DEP_2) | instskip(SKIP_2) | instid1(VALU_DEP_4)
	v_fma_f64 v[199:200], v[197:198], 0.5, v[199:200]
	v_mul_f64 v[197:198], v[197:198], s[8:9]
	v_mul_f64 v[0:1], v[0:1], -0.5
	v_add_f64 v[203:204], v[207:208], v[231:232]
	v_add_f64 v[207:208], v[207:208], -v[231:232]
	s_delay_alu instid0(VALU_DEP_4)
	v_fma_f64 v[201:202], v[195:196], 0.5, v[197:198]
	v_add_f64 v[195:196], v[209:210], v[199:200]
	v_add_f64 v[199:200], v[209:210], -v[199:200]
	v_fma_f64 v[209:210], v[241:242], s[2:3], v[233:234]
	v_fma_f64 v[0:1], v[2:3], s[8:9], v[0:1]
	v_add_f64 v[2:3], v[223:224], -v[227:228]
	v_add_f64 v[197:198], v[239:240], v[201:202]
	v_add_f64 v[201:202], v[239:240], -v[201:202]
	s_delay_alu instid0(VALU_DEP_4)
	v_add_f64 v[205:206], v[209:210], v[0:1]
	v_add_f64 v[209:210], v[209:210], -v[0:1]
	v_add_f64 v[0:1], v[223:224], v[227:228]
	v_add_f64 v[223:224], v[225:226], v[229:230]
	v_add_f64 v[227:228], v[211:212], -v[215:216]
	v_add_f64 v[225:226], v[225:226], -v[229:230]
	s_delay_alu instid0(VALU_DEP_4) | instskip(NEXT) | instid1(VALU_DEP_4)
	v_fma_f64 v[0:1], v[0:1], -0.5, v[219:220]
	v_fma_f64 v[221:222], v[223:224], -0.5, v[221:222]
	v_add_f64 v[223:224], v[213:214], -v[217:218]
	v_fma_f64 v[229:230], v[227:228], s[8:9], v[237:238]
	s_delay_alu instid0(VALU_DEP_4) | instskip(NEXT) | instid1(VALU_DEP_4)
	v_fma_f64 v[213:214], v[225:226], s[2:3], v[0:1]
	v_fma_f64 v[211:212], v[2:3], s[8:9], v[221:222]
	s_delay_alu instid0(VALU_DEP_4)
	v_fma_f64 v[219:220], v[223:224], s[2:3], v[235:236]
	v_fma_f64 v[0:1], v[225:226], s[8:9], v[0:1]
	;; [unrolled: 1-line block ×5, first 2 shown]
	v_mul_f64 v[215:216], v[211:212], s[2:3]
	s_delay_alu instid0(VALU_DEP_1) | instskip(SKIP_1) | instid1(VALU_DEP_1)
	v_fma_f64 v[215:216], v[213:214], 0.5, v[215:216]
	v_mul_f64 v[213:214], v[213:214], s[8:9]
	v_fma_f64 v[217:218], v[211:212], 0.5, v[213:214]
	s_delay_alu instid0(VALU_DEP_3) | instskip(SKIP_2) | instid1(VALU_DEP_4)
	v_add_f64 v[211:212], v[219:220], v[215:216]
	v_add_f64 v[215:216], v[219:220], -v[215:216]
	v_mul_f64 v[219:220], v[0:1], -0.5
	v_add_f64 v[213:214], v[229:230], v[217:218]
	v_add_f64 v[217:218], v[229:230], -v[217:218]
	s_delay_alu instid0(VALU_DEP_3) | instskip(SKIP_1) | instid1(VALU_DEP_2)
	v_fma_f64 v[227:228], v[2:3], s[2:3], v[219:220]
	v_mul_f64 v[2:3], v[2:3], -0.5
	v_add_f64 v[219:220], v[223:224], v[227:228]
	s_delay_alu instid0(VALU_DEP_2) | instskip(SKIP_1) | instid1(VALU_DEP_2)
	v_fma_f64 v[0:1], v[0:1], s[8:9], v[2:3]
	v_add_f64 v[223:224], v[223:224], -v[227:228]
	v_add_f64 v[221:222], v[225:226], v[0:1]
	v_add_f64 v[225:226], v[225:226], -v[0:1]
	v_add_co_u32 v0, vcc_lo, 0x5000, v171
	v_add_co_ci_u32_e32 v1, vcc_lo, 0, v172, vcc_lo
	ds_store_b128 v170, v[179:182]
	ds_store_b128 v170, v[183:186] offset:1728
	ds_store_b128 v170, v[187:190] offset:10368
	;; [unrolled: 1-line block ×11, first 2 shown]
	s_waitcnt lgkmcnt(0)
	s_barrier
	buffer_gl0_inv
	global_load_b128 v[179:182], v[0:1], off offset:256
	ds_load_b128 v[183:186], v170
	ds_load_b128 v[187:190], v170 offset:1728
	v_add_co_u32 v2, vcc_lo, 0x6000, v171
	v_add_co_ci_u32_e32 v3, vcc_lo, 0, v172, vcc_lo
	global_load_b128 v[191:194], v[2:3], off offset:1344
	s_waitcnt vmcnt(1) lgkmcnt(1)
	v_mul_f64 v[0:1], v[185:186], v[181:182]
	v_mul_f64 v[195:196], v[183:184], v[181:182]
	s_delay_alu instid0(VALU_DEP_2) | instskip(SKIP_2) | instid1(VALU_DEP_4)
	v_fma_f64 v[181:182], v[183:184], v[179:180], -v[0:1]
	v_add_co_u32 v0, vcc_lo, 0x5100, v171
	v_add_co_ci_u32_e32 v1, vcc_lo, 0, v172, vcc_lo
	v_fma_f64 v[183:184], v[185:186], v[179:180], v[195:196]
	s_clause 0x1
	global_load_b128 v[195:198], v[0:1], off offset:3456
	global_load_b128 v[199:202], v[0:1], off offset:1728
	ds_load_b128 v[203:206], v170 offset:3456
	ds_load_b128 v[207:210], v170 offset:5184
	;; [unrolled: 1-line block ×6, first 2 shown]
	s_waitcnt vmcnt(1) lgkmcnt(5)
	v_mul_f64 v[0:1], v[205:206], v[197:198]
	v_mul_f64 v[179:180], v[203:204], v[197:198]
	s_delay_alu instid0(VALU_DEP_2) | instskip(NEXT) | instid1(VALU_DEP_2)
	v_fma_f64 v[203:204], v[203:204], v[195:196], -v[0:1]
	v_fma_f64 v[205:206], v[205:206], v[195:196], v[179:180]
	global_load_b128 v[195:198], v[2:3], off offset:3072
	v_add_co_u32 v0, vcc_lo, 0x7000, v171
	v_add_co_ci_u32_e32 v1, vcc_lo, 0, v172, vcc_lo
	global_load_b128 v[215:218], v[0:1], off offset:704
	s_waitcnt vmcnt(1) lgkmcnt(3)
	v_mul_f64 v[2:3], v[213:214], v[197:198]
	v_mul_f64 v[179:180], v[211:212], v[197:198]
	s_delay_alu instid0(VALU_DEP_2) | instskip(NEXT) | instid1(VALU_DEP_2)
	v_fma_f64 v[211:212], v[211:212], v[195:196], -v[2:3]
	v_fma_f64 v[213:214], v[213:214], v[195:196], v[179:180]
	global_load_b128 v[195:198], v[0:1], off offset:2432
	v_add_co_u32 v2, vcc_lo, 0x8000, v171
	v_add_co_ci_u32_e32 v3, vcc_lo, 0, v172, vcc_lo
	global_load_b128 v[227:230], v[2:3], off offset:64
	s_waitcnt vmcnt(1) lgkmcnt(1)
	v_mul_f64 v[0:1], v[225:226], v[197:198]
	v_mul_f64 v[179:180], v[223:224], v[197:198]
	s_delay_alu instid0(VALU_DEP_2) | instskip(NEXT) | instid1(VALU_DEP_2)
	v_fma_f64 v[223:224], v[223:224], v[195:196], -v[0:1]
	v_fma_f64 v[225:226], v[225:226], v[195:196], v[179:180]
	s_clause 0x1
	global_load_b128 v[195:198], v[2:3], off offset:1792
	global_load_b128 v[235:238], v[2:3], off offset:3520
	ds_load_b128 v[239:242], v170 offset:13824
	ds_load_b128 v[243:246], v170 offset:15552
	s_waitcnt vmcnt(1) lgkmcnt(1)
	v_mul_f64 v[0:1], v[241:242], v[197:198]
	v_mul_f64 v[2:3], v[239:240], v[197:198]
	s_delay_alu instid0(VALU_DEP_2) | instskip(SKIP_2) | instid1(VALU_DEP_4)
	v_fma_f64 v[239:240], v[239:240], v[195:196], -v[0:1]
	v_add_co_u32 v0, vcc_lo, 0x9000, v171
	v_add_co_ci_u32_e32 v1, vcc_lo, 0, v172, vcc_lo
	v_fma_f64 v[241:242], v[241:242], v[195:196], v[2:3]
	s_clause 0x1
	global_load_b128 v[195:198], v[0:1], off offset:1152
	global_load_b128 v[247:250], v[0:1], off offset:2880
	ds_load_b128 v[251:254], v170 offset:17280
	ds_load_b128 v[0:3], v170 offset:19008
	s_waitcnt vmcnt(1) lgkmcnt(1)
	v_mul_f64 v[171:172], v[253:254], v[197:198]
	v_mul_f64 v[179:180], v[251:252], v[197:198]
	s_delay_alu instid0(VALU_DEP_2) | instskip(NEXT) | instid1(VALU_DEP_2)
	v_fma_f64 v[251:252], v[251:252], v[195:196], -v[171:172]
	v_fma_f64 v[253:254], v[253:254], v[195:196], v[179:180]
	v_mul_f64 v[171:172], v[189:190], v[201:202]
	v_mul_f64 v[179:180], v[187:188], v[201:202]
	s_delay_alu instid0(VALU_DEP_2) | instskip(NEXT) | instid1(VALU_DEP_2)
	v_fma_f64 v[185:186], v[187:188], v[199:200], -v[171:172]
	v_fma_f64 v[187:188], v[189:190], v[199:200], v[179:180]
	;; [unrolled: 5-line block ×6, first 2 shown]
	s_waitcnt vmcnt(0) lgkmcnt(0)
	v_mul_f64 v[171:172], v[2:3], v[249:250]
	v_mul_f64 v[179:180], v[0:1], v[249:250]
	s_delay_alu instid0(VALU_DEP_2) | instskip(NEXT) | instid1(VALU_DEP_2)
	v_fma_f64 v[0:1], v[0:1], v[247:248], -v[171:172]
	v_fma_f64 v[2:3], v[2:3], v[247:248], v[179:180]
	ds_store_b128 v170, v[181:184]
	ds_store_b128 v170, v[185:188] offset:1728
	ds_store_b128 v170, v[203:206] offset:3456
	;; [unrolled: 1-line block ×11, first 2 shown]
	s_waitcnt lgkmcnt(0)
	s_barrier
	buffer_gl0_inv
	ds_load_b128 v[0:3], v170 offset:6912
	ds_load_b128 v[179:182], v170
	ds_load_b128 v[183:186], v170 offset:1728
	ds_load_b128 v[187:190], v170 offset:8640
	;; [unrolled: 1-line block ×4, first 2 shown]
	s_waitcnt lgkmcnt(4)
	v_add_f64 v[171:172], v[179:180], v[0:1]
	v_add_f64 v[199:200], v[181:182], v[2:3]
	s_waitcnt lgkmcnt(1)
	v_add_f64 v[215:216], v[0:1], v[191:192]
	v_add_f64 v[217:218], v[2:3], v[193:194]
	v_add_f64 v[219:220], v[2:3], -v[193:194]
	v_add_f64 v[221:222], v[0:1], -v[191:192]
	v_add_f64 v[171:172], v[171:172], v[191:192]
	v_add_f64 v[223:224], v[199:200], v[193:194]
	ds_load_b128 v[0:3], v170 offset:10368
	ds_load_b128 v[191:194], v170 offset:3456
	;; [unrolled: 1-line block ×6, first 2 shown]
	v_fma_f64 v[215:216], v[215:216], -0.5, v[179:180]
	v_fma_f64 v[217:218], v[217:218], -0.5, v[181:182]
	s_waitcnt lgkmcnt(0)
	s_barrier
	buffer_gl0_inv
	v_add_f64 v[225:226], v[191:192], v[0:1]
	v_add_f64 v[227:228], v[193:194], v[2:3]
	;; [unrolled: 1-line block ×4, first 2 shown]
	v_add_f64 v[235:236], v[0:1], -v[207:208]
	v_add_f64 v[233:234], v[2:3], -v[209:210]
	v_add_f64 v[207:208], v[225:226], v[207:208]
	v_add_f64 v[209:210], v[227:228], v[209:210]
	v_fma_f64 v[225:226], v[229:230], -0.5, v[193:194]
	v_fma_f64 v[227:228], v[231:232], -0.5, v[191:192]
	s_delay_alu instid0(VALU_DEP_4) | instskip(SKIP_1) | instid1(VALU_DEP_4)
	v_add_f64 v[0:1], v[171:172], v[207:208]
	v_add_f64 v[179:180], v[171:172], -v[207:208]
	v_fma_f64 v[171:172], v[235:236], s[2:3], v[225:226]
	s_delay_alu instid0(VALU_DEP_4)
	v_fma_f64 v[193:194], v[233:234], s[8:9], v[227:228]
	v_add_f64 v[2:3], v[223:224], v[209:210]
	v_add_f64 v[181:182], v[223:224], -v[209:210]
	v_fma_f64 v[209:210], v[219:220], s[8:9], v[215:216]
	v_fma_f64 v[223:224], v[221:222], s[2:3], v[217:218]
	;; [unrolled: 1-line block ×4, first 2 shown]
	v_mul_f64 v[191:192], v[171:172], s[8:9]
	v_mul_f64 v[171:172], v[171:172], 0.5
	s_delay_alu instid0(VALU_DEP_2) | instskip(NEXT) | instid1(VALU_DEP_2)
	v_fma_f64 v[207:208], v[193:194], 0.5, v[191:192]
	v_fma_f64 v[171:172], v[193:194], s[2:3], v[171:172]
	s_delay_alu instid0(VALU_DEP_2) | instskip(NEXT) | instid1(VALU_DEP_2)
	v_add_f64 v[191:192], v[209:210], v[207:208]
	v_add_f64 v[193:194], v[223:224], v[171:172]
	v_add_f64 v[207:208], v[209:210], -v[207:208]
	v_add_f64 v[209:210], v[223:224], -v[171:172]
	v_fma_f64 v[171:172], v[235:236], s[8:9], v[225:226]
	v_fma_f64 v[223:224], v[233:234], s[2:3], v[227:228]
	s_delay_alu instid0(VALU_DEP_2) | instskip(SKIP_1) | instid1(VALU_DEP_2)
	v_mul_f64 v[215:216], v[171:172], s[8:9]
	v_mul_f64 v[171:172], v[171:172], -0.5
	v_fma_f64 v[225:226], v[223:224], -0.5, v[215:216]
	s_delay_alu instid0(VALU_DEP_2) | instskip(NEXT) | instid1(VALU_DEP_2)
	v_fma_f64 v[171:172], v[223:224], s[2:3], v[171:172]
	v_add_f64 v[215:216], v[219:220], v[225:226]
	s_delay_alu instid0(VALU_DEP_2)
	v_add_f64 v[217:218], v[221:222], v[171:172]
	v_add_f64 v[219:220], v[219:220], -v[225:226]
	v_add_f64 v[221:222], v[221:222], -v[171:172]
	ds_store_b128 v174, v[0:3]
	ds_store_b128 v174, v[191:194] offset:16
	ds_store_b128 v174, v[179:182] offset:48
	;; [unrolled: 1-line block ×5, first 2 shown]
	v_add_f64 v[0:1], v[183:184], v[187:188]
	v_add_f64 v[2:3], v[185:186], v[189:190]
	v_add_f64 v[191:192], v[189:190], -v[197:198]
	v_add_f64 v[179:180], v[189:190], v[197:198]
	v_add_f64 v[189:190], v[205:206], v[213:214]
	;; [unrolled: 1-line block ×3, first 2 shown]
	v_add_f64 v[193:194], v[187:188], -v[195:196]
	v_add_f64 v[181:182], v[0:1], v[195:196]
	v_add_f64 v[187:188], v[2:3], v[197:198]
	;; [unrolled: 1-line block ×5, first 2 shown]
	v_add_f64 v[197:198], v[203:204], -v[211:212]
	v_fma_f64 v[201:202], v[189:190], -0.5, v[201:202]
	v_add_f64 v[203:204], v[205:206], -v[213:214]
	v_fma_f64 v[171:172], v[171:172], -0.5, v[183:184]
	v_add_f64 v[205:206], v[0:1], v[211:212]
	v_add_f64 v[207:208], v[2:3], v[213:214]
	v_fma_f64 v[195:196], v[195:196], -0.5, v[199:200]
	v_fma_f64 v[199:200], v[179:180], -0.5, v[185:186]
	v_fma_f64 v[183:184], v[197:198], s[2:3], v[201:202]
	v_fma_f64 v[197:198], v[197:198], s[8:9], v[201:202]
	v_add_f64 v[0:1], v[181:182], v[205:206]
	v_add_f64 v[2:3], v[187:188], v[207:208]
	v_add_f64 v[179:180], v[181:182], -v[205:206]
	v_add_f64 v[181:182], v[187:188], -v[207:208]
	v_mul_f64 v[185:186], v[183:184], s[8:9]
	v_mul_f64 v[183:184], v[183:184], 0.5
	v_fma_f64 v[187:188], v[203:204], s[8:9], v[195:196]
	v_fma_f64 v[207:208], v[193:194], s[2:3], v[199:200]
	;; [unrolled: 1-line block ×4, first 2 shown]
	v_mul_f64 v[193:194], v[197:198], -0.5
	v_fma_f64 v[189:190], v[187:188], 0.5, v[185:186]
	v_fma_f64 v[205:206], v[187:188], s[2:3], v[183:184]
	v_fma_f64 v[187:188], v[191:192], s[8:9], v[171:172]
	v_fma_f64 v[171:172], v[191:192], s[2:3], v[171:172]
	v_mul_f64 v[191:192], v[197:198], s[8:9]
	v_fma_f64 v[201:202], v[195:196], s[2:3], v[193:194]
	v_add_f64 v[185:186], v[207:208], v[205:206]
	v_add_f64 v[183:184], v[187:188], v[189:190]
	v_add_f64 v[187:188], v[187:188], -v[189:190]
	v_fma_f64 v[197:198], v[195:196], -0.5, v[191:192]
	v_add_f64 v[193:194], v[199:200], v[201:202]
	v_add_f64 v[189:190], v[207:208], -v[205:206]
	s_delay_alu instid0(VALU_DEP_3)
	v_add_f64 v[191:192], v[171:172], v[197:198]
	v_add_f64 v[195:196], v[171:172], -v[197:198]
	v_add_f64 v[197:198], v[199:200], -v[201:202]
	ds_store_b128 v173, v[0:3]
	ds_store_b128 v173, v[183:186] offset:16
	ds_store_b128 v173, v[191:194] offset:32
	;; [unrolled: 1-line block ×5, first 2 shown]
	s_waitcnt lgkmcnt(0)
	s_barrier
	buffer_gl0_inv
	ds_load_b128 v[0:3], v170 offset:10368
	ds_load_b128 v[171:174], v170 offset:12096
	s_waitcnt lgkmcnt(1)
	v_mul_f64 v[179:180], v[50:51], v[0:1]
	s_delay_alu instid0(VALU_DEP_1) | instskip(SKIP_1) | instid1(VALU_DEP_1)
	v_fma_f64 v[179:180], v[48:49], v[2:3], -v[179:180]
	v_mul_f64 v[2:3], v[50:51], v[2:3]
	v_fma_f64 v[181:182], v[48:49], v[0:1], v[2:3]
	ds_load_b128 v[0:3], v170 offset:17280
	ds_load_b128 v[48:51], v170 offset:19008
	s_waitcnt lgkmcnt(1)
	v_mul_f64 v[183:184], v[86:87], v[0:1]
	s_delay_alu instid0(VALU_DEP_1) | instskip(SKIP_1) | instid1(VALU_DEP_1)
	v_fma_f64 v[183:184], v[84:85], v[2:3], -v[183:184]
	v_mul_f64 v[2:3], v[86:87], v[2:3]
	v_fma_f64 v[84:85], v[84:85], v[0:1], v[2:3]
	v_mul_f64 v[0:1], v[90:91], v[171:172]
	s_delay_alu instid0(VALU_DEP_1) | instskip(SKIP_1) | instid1(VALU_DEP_1)
	v_fma_f64 v[86:87], v[88:89], v[173:174], -v[0:1]
	v_mul_f64 v[0:1], v[90:91], v[173:174]
	v_fma_f64 v[88:89], v[88:89], v[171:172], v[0:1]
	s_waitcnt lgkmcnt(0)
	v_mul_f64 v[0:1], v[98:99], v[48:49]
	s_delay_alu instid0(VALU_DEP_1) | instskip(SKIP_1) | instid1(VALU_DEP_1)
	v_fma_f64 v[90:91], v[96:97], v[50:51], -v[0:1]
	v_mul_f64 v[0:1], v[98:99], v[50:51]
	v_fma_f64 v[96:97], v[96:97], v[48:49], v[0:1]
	ds_load_b128 v[0:3], v170 offset:6912
	ds_load_b128 v[48:51], v170 offset:8640
	s_waitcnt lgkmcnt(1)
	v_mul_f64 v[98:99], v[78:79], v[2:3]
	s_delay_alu instid0(VALU_DEP_1) | instskip(SKIP_1) | instid1(VALU_DEP_1)
	v_fma_f64 v[98:99], v[76:77], v[0:1], v[98:99]
	v_mul_f64 v[0:1], v[78:79], v[0:1]
	v_fma_f64 v[171:172], v[76:77], v[2:3], -v[0:1]
	ds_load_b128 v[0:3], v170 offset:13824
	ds_load_b128 v[76:79], v170 offset:15552
	s_waitcnt lgkmcnt(1)
	v_mul_f64 v[173:174], v[62:63], v[2:3]
	s_delay_alu instid0(VALU_DEP_1) | instskip(SKIP_1) | instid1(VALU_DEP_1)
	v_fma_f64 v[173:174], v[60:61], v[0:1], v[173:174]
	v_mul_f64 v[0:1], v[62:63], v[0:1]
	v_fma_f64 v[185:186], v[60:61], v[2:3], -v[0:1]
	ds_load_b128 v[0:3], v170 offset:3456
	ds_load_b128 v[60:63], v170 offset:5184
	s_waitcnt lgkmcnt(1)
	v_mul_f64 v[187:188], v[74:75], v[0:1]
	s_delay_alu instid0(VALU_DEP_1) | instskip(SKIP_2) | instid1(VALU_DEP_2)
	v_fma_f64 v[187:188], v[72:73], v[2:3], -v[187:188]
	v_mul_f64 v[2:3], v[74:75], v[2:3]
	v_add_f64 v[74:75], v[181:182], -v[84:85]
	v_fma_f64 v[72:73], v[72:73], v[0:1], v[2:3]
	v_mul_f64 v[0:1], v[66:67], v[50:51]
	s_delay_alu instid0(VALU_DEP_1) | instskip(SKIP_1) | instid1(VALU_DEP_1)
	v_fma_f64 v[189:190], v[64:65], v[48:49], v[0:1]
	v_mul_f64 v[0:1], v[66:67], v[48:49]
	v_fma_f64 v[191:192], v[64:65], v[50:51], -v[0:1]
	v_mul_f64 v[0:1], v[70:71], v[78:79]
	s_delay_alu instid0(VALU_DEP_1) | instskip(SKIP_1) | instid1(VALU_DEP_1)
	v_fma_f64 v[193:194], v[68:69], v[76:77], v[0:1]
	v_mul_f64 v[0:1], v[70:71], v[76:77]
	v_fma_f64 v[76:77], v[68:69], v[78:79], -v[0:1]
	s_waitcnt lgkmcnt(0)
	v_mul_f64 v[0:1], v[58:59], v[60:61]
	s_delay_alu instid0(VALU_DEP_1) | instskip(SKIP_1) | instid1(VALU_DEP_1)
	v_fma_f64 v[78:79], v[56:57], v[62:63], -v[0:1]
	v_mul_f64 v[0:1], v[58:59], v[62:63]
	v_fma_f64 v[195:196], v[56:57], v[60:61], v[0:1]
	v_add_f64 v[56:57], v[98:99], v[173:174]
	ds_load_b128 v[0:3], v170
	ds_load_b128 v[48:51], v170 offset:1728
	s_waitcnt lgkmcnt(0)
	s_barrier
	buffer_gl0_inv
	v_fma_f64 v[68:69], v[56:57], -0.5, v[0:1]
	v_add_f64 v[56:57], v[171:172], v[185:186]
	v_add_f64 v[0:1], v[0:1], v[98:99]
	v_add_f64 v[98:99], v[98:99], -v[173:174]
	s_delay_alu instid0(VALU_DEP_3) | instskip(NEXT) | instid1(VALU_DEP_3)
	v_fma_f64 v[70:71], v[56:57], -0.5, v[2:3]
	v_add_f64 v[56:57], v[0:1], v[173:174]
	v_add_f64 v[0:1], v[72:73], v[181:182]
	;; [unrolled: 1-line block ×3, first 2 shown]
	v_add_f64 v[171:172], v[171:172], -v[185:186]
	s_delay_alu instid0(VALU_DEP_3) | instskip(SKIP_1) | instid1(VALU_DEP_4)
	v_add_f64 v[60:61], v[0:1], v[84:85]
	v_add_f64 v[0:1], v[187:188], v[179:180]
	v_add_f64 v[58:59], v[2:3], v[185:186]
	s_delay_alu instid0(VALU_DEP_2) | instskip(NEXT) | instid1(VALU_DEP_4)
	v_add_f64 v[62:63], v[0:1], v[183:184]
	v_add_f64 v[0:1], v[56:57], v[60:61]
	v_add_f64 v[56:57], v[56:57], -v[60:61]
	v_add_f64 v[60:61], v[181:182], v[84:85]
	v_fma_f64 v[181:182], v[98:99], s[2:3], v[70:71]
	v_fma_f64 v[98:99], v[98:99], s[8:9], v[70:71]
	v_add_f64 v[2:3], v[58:59], v[62:63]
	v_add_f64 v[58:59], v[58:59], -v[62:63]
	v_add_f64 v[62:63], v[179:180], v[183:184]
	v_add_f64 v[179:180], v[179:180], -v[183:184]
	v_fma_f64 v[72:73], v[60:61], -0.5, v[72:73]
	s_delay_alu instid0(VALU_DEP_3) | instskip(NEXT) | instid1(VALU_DEP_2)
	v_fma_f64 v[84:85], v[62:63], -0.5, v[187:188]
	v_fma_f64 v[64:65], v[179:180], s[8:9], v[72:73]
	v_fma_f64 v[72:73], v[179:180], s[2:3], v[72:73]
	s_delay_alu instid0(VALU_DEP_3) | instskip(SKIP_2) | instid1(VALU_DEP_3)
	v_fma_f64 v[60:61], v[74:75], s[2:3], v[84:85]
	v_fma_f64 v[74:75], v[74:75], s[8:9], v[84:85]
	;; [unrolled: 1-line block ×3, first 2 shown]
	v_mul_f64 v[62:63], v[60:61], s[8:9]
	v_mul_f64 v[60:61], v[60:61], 0.5
	s_delay_alu instid0(VALU_DEP_4) | instskip(NEXT) | instid1(VALU_DEP_3)
	v_mul_f64 v[70:71], v[74:75], -0.5
	v_fma_f64 v[66:67], v[64:65], 0.5, v[62:63]
	s_delay_alu instid0(VALU_DEP_3) | instskip(SKIP_3) | instid1(VALU_DEP_4)
	v_fma_f64 v[173:174], v[64:65], s[2:3], v[60:61]
	v_fma_f64 v[64:65], v[171:172], s[8:9], v[68:69]
	v_mul_f64 v[68:69], v[74:75], s[8:9]
	v_fma_f64 v[171:172], v[72:73], s[2:3], v[70:71]
	v_add_f64 v[62:63], v[181:182], v[173:174]
	s_delay_alu instid0(VALU_DEP_4) | instskip(NEXT) | instid1(VALU_DEP_4)
	v_add_f64 v[60:61], v[64:65], v[66:67]
	v_fma_f64 v[74:75], v[72:73], -0.5, v[68:69]
	s_delay_alu instid0(VALU_DEP_4) | instskip(SKIP_2) | instid1(VALU_DEP_4)
	v_add_f64 v[70:71], v[98:99], v[171:172]
	v_add_f64 v[64:65], v[64:65], -v[66:67]
	v_add_f64 v[66:67], v[181:182], -v[173:174]
	v_add_f64 v[68:69], v[84:85], v[74:75]
	v_add_f64 v[72:73], v[84:85], -v[74:75]
	v_add_f64 v[74:75], v[98:99], -v[171:172]
	ds_store_b128 v176, v[0:3]
	ds_store_b128 v176, v[60:63] offset:96
	ds_store_b128 v176, v[56:59] offset:288
	;; [unrolled: 1-line block ×5, first 2 shown]
	v_add_f64 v[0:1], v[189:190], v[193:194]
	v_add_f64 v[2:3], v[50:51], v[191:192]
	v_add_f64 v[68:69], v[88:89], -v[96:97]
	v_add_f64 v[72:73], v[86:87], -v[90:91]
	;; [unrolled: 1-line block ×3, first 2 shown]
	v_fma_f64 v[64:65], v[0:1], -0.5, v[48:49]
	v_add_f64 v[0:1], v[191:192], v[76:77]
	s_delay_alu instid0(VALU_DEP_1) | instskip(SKIP_3) | instid1(VALU_DEP_3)
	v_fma_f64 v[66:67], v[0:1], -0.5, v[50:51]
	v_add_f64 v[0:1], v[48:49], v[189:190]
	v_add_f64 v[50:51], v[2:3], v[76:77]
	v_add_f64 v[76:77], v[189:190], -v[193:194]
	v_add_f64 v[48:49], v[0:1], v[193:194]
	v_add_f64 v[0:1], v[195:196], v[88:89]
	s_delay_alu instid0(VALU_DEP_1) | instskip(SKIP_1) | instid1(VALU_DEP_1)
	v_add_f64 v[56:57], v[0:1], v[96:97]
	v_add_f64 v[0:1], v[78:79], v[86:87]
	;; [unrolled: 1-line block ×3, first 2 shown]
	s_delay_alu instid0(VALU_DEP_3) | instskip(SKIP_2) | instid1(VALU_DEP_4)
	v_add_f64 v[0:1], v[48:49], v[56:57]
	v_add_f64 v[48:49], v[48:49], -v[56:57]
	v_add_f64 v[56:57], v[88:89], v[96:97]
	v_add_f64 v[2:3], v[50:51], v[58:59]
	v_add_f64 v[50:51], v[50:51], -v[58:59]
	v_add_f64 v[58:59], v[86:87], v[90:91]
	v_fma_f64 v[86:87], v[76:77], s[2:3], v[66:67]
	s_delay_alu instid0(VALU_DEP_2) | instskip(SKIP_1) | instid1(VALU_DEP_2)
	v_fma_f64 v[70:71], v[58:59], -0.5, v[78:79]
	v_fma_f64 v[78:79], v[56:57], -0.5, v[195:196]
	v_fma_f64 v[56:57], v[68:69], s[2:3], v[70:71]
	s_delay_alu instid0(VALU_DEP_2)
	v_fma_f64 v[60:61], v[72:73], s[8:9], v[78:79]
	v_fma_f64 v[68:69], v[68:69], s[8:9], v[70:71]
	;; [unrolled: 1-line block ×4, first 2 shown]
	v_mul_f64 v[58:59], v[56:57], s[8:9]
	v_mul_f64 v[56:57], v[56:57], 0.5
	s_delay_alu instid0(VALU_DEP_2) | instskip(NEXT) | instid1(VALU_DEP_2)
	v_fma_f64 v[62:63], v[60:61], 0.5, v[58:59]
	v_fma_f64 v[84:85], v[60:61], s[2:3], v[56:57]
	v_fma_f64 v[60:61], v[74:75], s[8:9], v[64:65]
	;; [unrolled: 1-line block ×3, first 2 shown]
	v_mul_f64 v[64:65], v[68:69], s[8:9]
	v_mul_f64 v[66:67], v[68:69], -0.5
	v_add_f64 v[58:59], v[86:87], v[84:85]
	v_add_f64 v[56:57], v[60:61], v[62:63]
	v_add_f64 v[60:61], v[60:61], -v[62:63]
	v_fma_f64 v[68:69], v[70:71], -0.5, v[64:65]
	v_fma_f64 v[70:71], v[70:71], s[2:3], v[66:67]
	v_add_f64 v[62:63], v[86:87], -v[84:85]
	s_delay_alu instid0(VALU_DEP_3) | instskip(NEXT) | instid1(VALU_DEP_3)
	v_add_f64 v[64:65], v[72:73], v[68:69]
	v_add_f64 v[66:67], v[74:75], v[70:71]
	v_add_f64 v[68:69], v[72:73], -v[68:69]
	v_add_f64 v[70:71], v[74:75], -v[70:71]
	ds_store_b128 v175, v[0:3]
	ds_store_b128 v175, v[56:59] offset:96
	ds_store_b128 v175, v[64:67] offset:192
	;; [unrolled: 1-line block ×5, first 2 shown]
	s_waitcnt lgkmcnt(0)
	s_barrier
	buffer_gl0_inv
	ds_load_b128 v[0:3], v170 offset:10368
	ds_load_b128 v[48:51], v170 offset:12096
	s_waitcnt lgkmcnt(1)
	v_mul_f64 v[56:57], v[82:83], v[0:1]
	s_delay_alu instid0(VALU_DEP_1) | instskip(SKIP_1) | instid1(VALU_DEP_1)
	v_fma_f64 v[64:65], v[80:81], v[2:3], -v[56:57]
	v_mul_f64 v[2:3], v[82:83], v[2:3]
	v_fma_f64 v[66:67], v[80:81], v[0:1], v[2:3]
	ds_load_b128 v[0:3], v170 offset:17280
	ds_load_b128 v[56:59], v170 offset:19008
	s_waitcnt lgkmcnt(1)
	v_mul_f64 v[60:61], v[142:143], v[0:1]
	s_delay_alu instid0(VALU_DEP_1) | instskip(SKIP_1) | instid1(VALU_DEP_1)
	v_fma_f64 v[68:69], v[140:141], v[2:3], -v[60:61]
	v_mul_f64 v[2:3], v[142:143], v[2:3]
	v_fma_f64 v[70:71], v[140:141], v[0:1], v[2:3]
	v_mul_f64 v[0:1], v[146:147], v[48:49]
	s_delay_alu instid0(VALU_DEP_1) | instskip(SKIP_1) | instid1(VALU_DEP_1)
	v_fma_f64 v[76:77], v[144:145], v[50:51], -v[0:1]
	v_mul_f64 v[0:1], v[146:147], v[50:51]
	v_fma_f64 v[78:79], v[144:145], v[48:49], v[0:1]
	s_waitcnt lgkmcnt(0)
	v_mul_f64 v[0:1], v[150:151], v[56:57]
	s_delay_alu instid0(VALU_DEP_1) | instskip(SKIP_1) | instid1(VALU_DEP_1)
	v_fma_f64 v[80:81], v[148:149], v[58:59], -v[0:1]
	v_mul_f64 v[0:1], v[150:151], v[58:59]
	v_fma_f64 v[82:83], v[148:149], v[56:57], v[0:1]
	ds_load_b128 v[0:3], v170 offset:6912
	ds_load_b128 v[48:51], v170 offset:8640
	s_waitcnt lgkmcnt(1)
	v_mul_f64 v[56:57], v[130:131], v[2:3]
	s_delay_alu instid0(VALU_DEP_1) | instskip(SKIP_1) | instid1(VALU_DEP_1)
	v_fma_f64 v[72:73], v[128:129], v[0:1], v[56:57]
	v_mul_f64 v[0:1], v[130:131], v[0:1]
	v_fma_f64 v[74:75], v[128:129], v[2:3], -v[0:1]
	ds_load_b128 v[0:3], v170 offset:13824
	ds_load_b128 v[56:59], v170 offset:15552
	s_waitcnt lgkmcnt(1)
	v_mul_f64 v[60:61], v[106:107], v[2:3]
	s_delay_alu instid0(VALU_DEP_1) | instskip(SKIP_1) | instid1(VALU_DEP_1)
	v_fma_f64 v[84:85], v[104:105], v[0:1], v[60:61]
	v_mul_f64 v[0:1], v[106:107], v[0:1]
	v_fma_f64 v[86:87], v[104:105], v[2:3], -v[0:1]
	ds_load_b128 v[0:3], v170 offset:3456
	ds_load_b128 v[60:63], v170 offset:5184
	s_waitcnt lgkmcnt(1)
	v_mul_f64 v[88:89], v[118:119], v[0:1]
	s_delay_alu instid0(VALU_DEP_1) | instskip(SKIP_1) | instid1(VALU_DEP_1)
	v_fma_f64 v[88:89], v[116:117], v[2:3], -v[88:89]
	v_mul_f64 v[2:3], v[118:119], v[2:3]
	v_fma_f64 v[90:91], v[116:117], v[0:1], v[2:3]
	v_mul_f64 v[0:1], v[110:111], v[50:51]
	s_delay_alu instid0(VALU_DEP_1) | instskip(SKIP_1) | instid1(VALU_DEP_1)
	v_fma_f64 v[96:97], v[108:109], v[48:49], v[0:1]
	v_mul_f64 v[0:1], v[110:111], v[48:49]
	v_fma_f64 v[98:99], v[108:109], v[50:51], -v[0:1]
	v_mul_f64 v[0:1], v[114:115], v[58:59]
	s_delay_alu instid0(VALU_DEP_1) | instskip(SKIP_2) | instid1(VALU_DEP_2)
	v_fma_f64 v[104:105], v[112:113], v[56:57], v[0:1]
	v_mul_f64 v[0:1], v[114:115], v[56:57]
	v_add_f64 v[56:57], v[72:73], v[84:85]
	v_fma_f64 v[106:107], v[112:113], v[58:59], -v[0:1]
	s_waitcnt lgkmcnt(0)
	v_mul_f64 v[0:1], v[102:103], v[60:61]
	s_delay_alu instid0(VALU_DEP_1) | instskip(SKIP_1) | instid1(VALU_DEP_1)
	v_fma_f64 v[108:109], v[100:101], v[62:63], -v[0:1]
	v_mul_f64 v[0:1], v[102:103], v[62:63]
	v_fma_f64 v[100:101], v[100:101], v[60:61], v[0:1]
	ds_load_b128 v[0:3], v170
	ds_load_b128 v[48:51], v170 offset:1728
	s_waitcnt lgkmcnt(0)
	s_barrier
	buffer_gl0_inv
	v_fma_f64 v[102:103], v[56:57], -0.5, v[0:1]
	v_add_f64 v[56:57], v[74:75], v[86:87]
	v_add_f64 v[0:1], v[0:1], v[72:73]
	v_add_f64 v[72:73], v[72:73], -v[84:85]
	s_delay_alu instid0(VALU_DEP_3) | instskip(NEXT) | instid1(VALU_DEP_3)
	v_fma_f64 v[110:111], v[56:57], -0.5, v[2:3]
	v_add_f64 v[56:57], v[0:1], v[84:85]
	v_add_f64 v[0:1], v[90:91], v[66:67]
	;; [unrolled: 1-line block ×3, first 2 shown]
	v_add_f64 v[74:75], v[74:75], -v[86:87]
	s_delay_alu instid0(VALU_DEP_3) | instskip(SKIP_1) | instid1(VALU_DEP_4)
	v_add_f64 v[60:61], v[0:1], v[70:71]
	v_add_f64 v[0:1], v[88:89], v[64:65]
	;; [unrolled: 1-line block ×3, first 2 shown]
	s_delay_alu instid0(VALU_DEP_2) | instskip(NEXT) | instid1(VALU_DEP_4)
	v_add_f64 v[62:63], v[0:1], v[68:69]
	v_add_f64 v[0:1], v[56:57], v[60:61]
	v_add_f64 v[56:57], v[56:57], -v[60:61]
	v_add_f64 v[60:61], v[66:67], v[70:71]
	v_add_f64 v[70:71], v[66:67], -v[70:71]
	;; [unrolled: 2-line block ×4, first 2 shown]
	v_fma_f64 v[84:85], v[60:61], -0.5, v[90:91]
	v_fma_f64 v[90:91], v[72:73], s[2:3], v[110:111]
	s_delay_alu instid0(VALU_DEP_4) | instskip(NEXT) | instid1(VALU_DEP_3)
	v_fma_f64 v[88:89], v[62:63], -0.5, v[88:89]
	v_fma_f64 v[64:65], v[68:69], s[8:9], v[84:85]
	v_fma_f64 v[68:69], v[68:69], s[2:3], v[84:85]
	;; [unrolled: 1-line block ×3, first 2 shown]
	s_delay_alu instid0(VALU_DEP_4) | instskip(SKIP_1) | instid1(VALU_DEP_2)
	v_fma_f64 v[60:61], v[70:71], s[2:3], v[88:89]
	v_fma_f64 v[70:71], v[70:71], s[8:9], v[88:89]
	v_mul_f64 v[62:63], v[60:61], s[8:9]
	v_mul_f64 v[60:61], v[60:61], 0.5
	s_delay_alu instid0(VALU_DEP_3) | instskip(SKIP_1) | instid1(VALU_DEP_4)
	v_mul_f64 v[72:73], v[70:71], s[8:9]
	v_mul_f64 v[70:71], v[70:71], -0.5
	v_fma_f64 v[66:67], v[64:65], 0.5, v[62:63]
	s_delay_alu instid0(VALU_DEP_4) | instskip(SKIP_3) | instid1(VALU_DEP_4)
	v_fma_f64 v[86:87], v[64:65], s[2:3], v[60:61]
	v_fma_f64 v[64:65], v[74:75], s[8:9], v[102:103]
	;; [unrolled: 1-line block ×3, first 2 shown]
	v_fma_f64 v[72:73], v[68:69], -0.5, v[72:73]
	v_add_f64 v[62:63], v[90:91], v[86:87]
	s_delay_alu instid0(VALU_DEP_4)
	v_add_f64 v[60:61], v[64:65], v[66:67]
	v_add_f64 v[64:65], v[64:65], -v[66:67]
	v_add_f64 v[66:67], v[90:91], -v[86:87]
	v_fma_f64 v[86:87], v[68:69], s[2:3], v[70:71]
	v_add_f64 v[68:69], v[74:75], v[72:73]
	v_add_f64 v[72:73], v[74:75], -v[72:73]
	s_delay_alu instid0(VALU_DEP_3)
	v_add_f64 v[70:71], v[84:85], v[86:87]
	v_add_f64 v[74:75], v[84:85], -v[86:87]
	ds_store_b128 v178, v[0:3]
	ds_store_b128 v178, v[60:63] offset:576
	ds_store_b128 v178, v[56:59] offset:1728
	;; [unrolled: 1-line block ×5, first 2 shown]
	v_add_f64 v[0:1], v[96:97], v[104:105]
	v_add_f64 v[2:3], v[50:51], v[98:99]
	v_add_f64 v[68:69], v[78:79], -v[82:83]
	v_add_f64 v[72:73], v[76:77], -v[80:81]
	;; [unrolled: 1-line block ×3, first 2 shown]
	v_fma_f64 v[64:65], v[0:1], -0.5, v[48:49]
	v_add_f64 v[0:1], v[98:99], v[106:107]
	s_delay_alu instid0(VALU_DEP_1) | instskip(SKIP_2) | instid1(VALU_DEP_2)
	v_fma_f64 v[66:67], v[0:1], -0.5, v[50:51]
	v_add_f64 v[0:1], v[48:49], v[96:97]
	v_add_f64 v[50:51], v[2:3], v[106:107]
	;; [unrolled: 1-line block ×4, first 2 shown]
	s_delay_alu instid0(VALU_DEP_1) | instskip(SKIP_1) | instid1(VALU_DEP_1)
	v_add_f64 v[56:57], v[0:1], v[82:83]
	v_add_f64 v[0:1], v[108:109], v[76:77]
	;; [unrolled: 1-line block ×3, first 2 shown]
	s_delay_alu instid0(VALU_DEP_3) | instskip(SKIP_2) | instid1(VALU_DEP_4)
	v_add_f64 v[0:1], v[48:49], v[56:57]
	v_add_f64 v[48:49], v[48:49], -v[56:57]
	v_add_f64 v[56:57], v[78:79], v[82:83]
	v_add_f64 v[2:3], v[50:51], v[58:59]
	v_add_f64 v[50:51], v[50:51], -v[58:59]
	v_add_f64 v[58:59], v[76:77], v[80:81]
	s_delay_alu instid0(VALU_DEP_4) | instskip(SKIP_1) | instid1(VALU_DEP_3)
	v_fma_f64 v[78:79], v[56:57], -0.5, v[100:101]
	v_add_f64 v[76:77], v[96:97], -v[104:105]
	v_fma_f64 v[70:71], v[58:59], -0.5, v[108:109]
	s_delay_alu instid0(VALU_DEP_3) | instskip(NEXT) | instid1(VALU_DEP_3)
	v_fma_f64 v[60:61], v[72:73], s[8:9], v[78:79]
	v_fma_f64 v[82:83], v[76:77], s[2:3], v[66:67]
	s_delay_alu instid0(VALU_DEP_3) | instskip(SKIP_3) | instid1(VALU_DEP_4)
	v_fma_f64 v[56:57], v[68:69], s[2:3], v[70:71]
	v_fma_f64 v[68:69], v[68:69], s[8:9], v[70:71]
	;; [unrolled: 1-line block ×4, first 2 shown]
	v_mul_f64 v[58:59], v[56:57], s[8:9]
	v_mul_f64 v[56:57], v[56:57], 0.5
	s_delay_alu instid0(VALU_DEP_2) | instskip(NEXT) | instid1(VALU_DEP_2)
	v_fma_f64 v[62:63], v[60:61], 0.5, v[58:59]
	v_fma_f64 v[80:81], v[60:61], s[2:3], v[56:57]
	v_fma_f64 v[60:61], v[74:75], s[8:9], v[64:65]
	;; [unrolled: 1-line block ×3, first 2 shown]
	v_mul_f64 v[64:65], v[68:69], s[8:9]
	v_mul_f64 v[66:67], v[68:69], -0.5
	v_add_f64 v[58:59], v[82:83], v[80:81]
	v_add_f64 v[56:57], v[60:61], v[62:63]
	v_add_f64 v[60:61], v[60:61], -v[62:63]
	v_fma_f64 v[68:69], v[70:71], -0.5, v[64:65]
	v_fma_f64 v[70:71], v[70:71], s[2:3], v[66:67]
	v_add_f64 v[62:63], v[82:83], -v[80:81]
	s_delay_alu instid0(VALU_DEP_3) | instskip(NEXT) | instid1(VALU_DEP_3)
	v_add_f64 v[64:65], v[72:73], v[68:69]
	v_add_f64 v[66:67], v[74:75], v[70:71]
	v_add_f64 v[68:69], v[72:73], -v[68:69]
	v_add_f64 v[70:71], v[74:75], -v[70:71]
	ds_store_b128 v177, v[0:3]
	ds_store_b128 v177, v[56:59] offset:576
	ds_store_b128 v177, v[64:67] offset:1152
	;; [unrolled: 1-line block ×5, first 2 shown]
	s_waitcnt lgkmcnt(0)
	s_barrier
	buffer_gl0_inv
	ds_load_b128 v[0:3], v170 offset:10368
	ds_load_b128 v[48:51], v170 offset:12096
	s_waitcnt lgkmcnt(1)
	v_mul_f64 v[56:57], v[158:159], v[0:1]
	s_delay_alu instid0(VALU_DEP_1) | instskip(SKIP_1) | instid1(VALU_DEP_1)
	v_fma_f64 v[64:65], v[156:157], v[2:3], -v[56:57]
	v_mul_f64 v[2:3], v[158:159], v[2:3]
	v_fma_f64 v[66:67], v[156:157], v[0:1], v[2:3]
	ds_load_b128 v[0:3], v170 offset:17280
	ds_load_b128 v[56:59], v170 offset:19008
	s_waitcnt lgkmcnt(1)
	v_mul_f64 v[60:61], v[154:155], v[0:1]
	s_delay_alu instid0(VALU_DEP_1) | instskip(SKIP_1) | instid1(VALU_DEP_1)
	v_fma_f64 v[68:69], v[152:153], v[2:3], -v[60:61]
	v_mul_f64 v[2:3], v[154:155], v[2:3]
	v_fma_f64 v[70:71], v[152:153], v[0:1], v[2:3]
	v_mul_f64 v[0:1], v[162:163], v[48:49]
	s_delay_alu instid0(VALU_DEP_1) | instskip(SKIP_1) | instid1(VALU_DEP_1)
	v_fma_f64 v[76:77], v[160:161], v[50:51], -v[0:1]
	v_mul_f64 v[0:1], v[162:163], v[50:51]
	v_fma_f64 v[78:79], v[160:161], v[48:49], v[0:1]
	s_waitcnt lgkmcnt(0)
	v_mul_f64 v[0:1], v[166:167], v[56:57]
	s_delay_alu instid0(VALU_DEP_1) | instskip(SKIP_1) | instid1(VALU_DEP_1)
	v_fma_f64 v[80:81], v[164:165], v[58:59], -v[0:1]
	v_mul_f64 v[0:1], v[166:167], v[58:59]
	v_fma_f64 v[82:83], v[164:165], v[56:57], v[0:1]
	ds_load_b128 v[0:3], v170 offset:6912
	ds_load_b128 v[48:51], v170 offset:8640
	s_waitcnt lgkmcnt(1)
	v_mul_f64 v[56:57], v[94:95], v[2:3]
	s_delay_alu instid0(VALU_DEP_1) | instskip(SKIP_1) | instid1(VALU_DEP_1)
	v_fma_f64 v[72:73], v[92:93], v[0:1], v[56:57]
	v_mul_f64 v[0:1], v[94:95], v[0:1]
	v_fma_f64 v[74:75], v[92:93], v[2:3], -v[0:1]
	ds_load_b128 v[0:3], v170 offset:13824
	ds_load_b128 v[56:59], v170 offset:15552
	s_waitcnt lgkmcnt(1)
	v_mul_f64 v[60:61], v[122:123], v[2:3]
	s_delay_alu instid0(VALU_DEP_1) | instskip(SKIP_1) | instid1(VALU_DEP_1)
	v_fma_f64 v[84:85], v[120:121], v[0:1], v[60:61]
	v_mul_f64 v[0:1], v[122:123], v[0:1]
	v_fma_f64 v[86:87], v[120:121], v[2:3], -v[0:1]
	ds_load_b128 v[0:3], v170 offset:3456
	ds_load_b128 v[60:63], v170 offset:5184
	s_waitcnt lgkmcnt(1)
	v_mul_f64 v[88:89], v[54:55], v[0:1]
	s_delay_alu instid0(VALU_DEP_1) | instskip(SKIP_1) | instid1(VALU_DEP_1)
	v_fma_f64 v[88:89], v[52:53], v[2:3], -v[88:89]
	v_mul_f64 v[2:3], v[54:55], v[2:3]
	v_fma_f64 v[90:91], v[52:53], v[0:1], v[2:3]
	v_mul_f64 v[0:1], v[134:135], v[50:51]
	v_add_f64 v[52:53], v[72:73], v[84:85]
	s_delay_alu instid0(VALU_DEP_2) | instskip(SKIP_1) | instid1(VALU_DEP_1)
	v_fma_f64 v[92:93], v[132:133], v[48:49], v[0:1]
	v_mul_f64 v[0:1], v[134:135], v[48:49]
	v_fma_f64 v[94:95], v[132:133], v[50:51], -v[0:1]
	v_mul_f64 v[0:1], v[138:139], v[58:59]
	s_delay_alu instid0(VALU_DEP_1) | instskip(SKIP_1) | instid1(VALU_DEP_1)
	v_fma_f64 v[96:97], v[136:137], v[56:57], v[0:1]
	v_mul_f64 v[0:1], v[138:139], v[56:57]
	v_fma_f64 v[98:99], v[136:137], v[58:59], -v[0:1]
	s_waitcnt lgkmcnt(0)
	v_mul_f64 v[0:1], v[126:127], v[60:61]
	s_delay_alu instid0(VALU_DEP_1) | instskip(SKIP_1) | instid1(VALU_DEP_1)
	v_fma_f64 v[100:101], v[124:125], v[62:63], -v[0:1]
	v_mul_f64 v[0:1], v[126:127], v[62:63]
	v_fma_f64 v[102:103], v[124:125], v[60:61], v[0:1]
	ds_load_b128 v[0:3], v170
	ds_load_b128 v[48:51], v170 offset:1728
	s_waitcnt lgkmcnt(1)
	v_fma_f64 v[104:105], v[52:53], -0.5, v[0:1]
	v_add_f64 v[52:53], v[74:75], v[86:87]
	v_add_f64 v[0:1], v[0:1], v[72:73]
	v_add_f64 v[72:73], v[72:73], -v[84:85]
	s_delay_alu instid0(VALU_DEP_3) | instskip(NEXT) | instid1(VALU_DEP_3)
	v_fma_f64 v[106:107], v[52:53], -0.5, v[2:3]
	v_add_f64 v[52:53], v[0:1], v[84:85]
	v_add_f64 v[0:1], v[90:91], v[66:67]
	;; [unrolled: 1-line block ×3, first 2 shown]
	v_add_f64 v[74:75], v[74:75], -v[86:87]
	s_delay_alu instid0(VALU_DEP_3) | instskip(SKIP_1) | instid1(VALU_DEP_4)
	v_add_f64 v[56:57], v[0:1], v[70:71]
	v_add_f64 v[0:1], v[88:89], v[64:65]
	;; [unrolled: 1-line block ×3, first 2 shown]
	s_delay_alu instid0(VALU_DEP_2) | instskip(NEXT) | instid1(VALU_DEP_4)
	v_add_f64 v[58:59], v[0:1], v[68:69]
	v_add_f64 v[0:1], v[52:53], v[56:57]
	v_add_f64 v[52:53], v[52:53], -v[56:57]
	v_add_f64 v[56:57], v[92:93], v[96:97]
	s_delay_alu instid0(VALU_DEP_4) | instskip(SKIP_2) | instid1(VALU_DEP_3)
	v_add_f64 v[2:3], v[54:55], v[58:59]
	v_add_f64 v[54:55], v[54:55], -v[58:59]
	s_waitcnt lgkmcnt(0)
	v_fma_f64 v[108:109], v[56:57], -0.5, v[48:49]
	v_add_f64 v[56:57], v[94:95], v[98:99]
	v_add_f64 v[48:49], v[48:49], v[92:93]
	v_add_f64 v[92:93], v[92:93], -v[96:97]
	s_delay_alu instid0(VALU_DEP_3) | instskip(NEXT) | instid1(VALU_DEP_3)
	v_fma_f64 v[110:111], v[56:57], -0.5, v[50:51]
	v_add_f64 v[56:57], v[48:49], v[96:97]
	v_add_f64 v[48:49], v[102:103], v[78:79]
	;; [unrolled: 1-line block ×3, first 2 shown]
	v_add_f64 v[94:95], v[94:95], -v[98:99]
	s_delay_alu instid0(VALU_DEP_3) | instskip(SKIP_1) | instid1(VALU_DEP_4)
	v_add_f64 v[60:61], v[48:49], v[82:83]
	v_add_f64 v[48:49], v[100:101], v[76:77]
	;; [unrolled: 1-line block ×3, first 2 shown]
	v_fma_f64 v[98:99], v[92:93], s[2:3], v[110:111]
	s_delay_alu instid0(VALU_DEP_3)
	v_add_f64 v[62:63], v[48:49], v[80:81]
	v_add_f64 v[48:49], v[56:57], v[60:61]
	v_add_f64 v[56:57], v[56:57], -v[60:61]
	v_add_f64 v[60:61], v[66:67], v[70:71]
	v_add_f64 v[70:71], v[66:67], -v[70:71]
	;; [unrolled: 2-line block ×4, first 2 shown]
	v_fma_f64 v[84:85], v[60:61], -0.5, v[90:91]
	v_fma_f64 v[90:91], v[72:73], s[2:3], v[106:107]
	s_delay_alu instid0(VALU_DEP_4) | instskip(NEXT) | instid1(VALU_DEP_3)
	v_fma_f64 v[88:89], v[62:63], -0.5, v[88:89]
	v_fma_f64 v[64:65], v[68:69], s[8:9], v[84:85]
	v_fma_f64 v[68:69], v[68:69], s[2:3], v[84:85]
	;; [unrolled: 1-line block ×3, first 2 shown]
	s_delay_alu instid0(VALU_DEP_4) | instskip(SKIP_1) | instid1(VALU_DEP_2)
	v_fma_f64 v[60:61], v[70:71], s[2:3], v[88:89]
	v_fma_f64 v[70:71], v[70:71], s[8:9], v[88:89]
	v_mul_f64 v[62:63], v[60:61], s[8:9]
	v_mul_f64 v[60:61], v[60:61], 0.5
	s_delay_alu instid0(VALU_DEP_3) | instskip(SKIP_1) | instid1(VALU_DEP_4)
	v_mul_f64 v[72:73], v[70:71], s[8:9]
	v_mul_f64 v[70:71], v[70:71], -0.5
	v_fma_f64 v[66:67], v[64:65], 0.5, v[62:63]
	s_delay_alu instid0(VALU_DEP_4) | instskip(SKIP_3) | instid1(VALU_DEP_4)
	v_fma_f64 v[86:87], v[64:65], s[2:3], v[60:61]
	v_fma_f64 v[64:65], v[74:75], s[8:9], v[104:105]
	;; [unrolled: 1-line block ×3, first 2 shown]
	v_fma_f64 v[72:73], v[68:69], -0.5, v[72:73]
	v_add_f64 v[62:63], v[90:91], v[86:87]
	s_delay_alu instid0(VALU_DEP_4)
	v_add_f64 v[60:61], v[64:65], v[66:67]
	v_add_f64 v[64:65], v[64:65], -v[66:67]
	v_add_f64 v[66:67], v[90:91], -v[86:87]
	v_fma_f64 v[86:87], v[68:69], s[2:3], v[70:71]
	v_add_f64 v[68:69], v[74:75], v[72:73]
	v_add_f64 v[72:73], v[74:75], -v[72:73]
	v_add_f64 v[90:91], v[76:77], -v[80:81]
	s_delay_alu instid0(VALU_DEP_4) | instskip(SKIP_4) | instid1(VALU_DEP_3)
	v_add_f64 v[70:71], v[84:85], v[86:87]
	v_add_f64 v[74:75], v[84:85], -v[86:87]
	v_add_f64 v[84:85], v[78:79], v[82:83]
	v_add_f64 v[86:87], v[78:79], -v[82:83]
	v_add_f64 v[78:79], v[76:77], v[80:81]
	v_fma_f64 v[84:85], v[84:85], -0.5, v[102:103]
	s_delay_alu instid0(VALU_DEP_2) | instskip(NEXT) | instid1(VALU_DEP_2)
	v_fma_f64 v[88:89], v[78:79], -0.5, v[100:101]
	v_fma_f64 v[80:81], v[90:91], s[8:9], v[84:85]
	v_fma_f64 v[84:85], v[90:91], s[2:3], v[84:85]
	s_delay_alu instid0(VALU_DEP_3) | instskip(SKIP_3) | instid1(VALU_DEP_4)
	v_fma_f64 v[76:77], v[86:87], s[2:3], v[88:89]
	v_fma_f64 v[86:87], v[86:87], s[8:9], v[88:89]
	;; [unrolled: 1-line block ×4, first 2 shown]
	v_mul_f64 v[78:79], v[76:77], s[8:9]
	v_mul_f64 v[76:77], v[76:77], 0.5
	v_mul_f64 v[92:93], v[86:87], s[8:9]
	v_mul_f64 v[86:87], v[86:87], -0.5
	s_delay_alu instid0(VALU_DEP_4) | instskip(NEXT) | instid1(VALU_DEP_4)
	v_fma_f64 v[82:83], v[80:81], 0.5, v[78:79]
	v_fma_f64 v[96:97], v[80:81], s[2:3], v[76:77]
	v_fma_f64 v[80:81], v[94:95], s[8:9], v[108:109]
	v_fma_f64 v[92:93], v[84:85], -0.5, v[92:93]
	v_fma_f64 v[94:95], v[84:85], s[2:3], v[86:87]
	s_mul_i32 s2, s5, 0xd80
	s_mul_hi_u32 s3, s4, 0xd80
	s_delay_alu instid0(SALU_CYCLE_1) | instskip(NEXT) | instid1(VALU_DEP_4)
	s_add_i32 s3, s3, s2
	v_add_f64 v[78:79], v[98:99], v[96:97]
	s_delay_alu instid0(VALU_DEP_4) | instskip(NEXT) | instid1(VALU_DEP_4)
	v_add_f64 v[76:77], v[80:81], v[82:83]
	v_add_f64 v[84:85], v[88:89], v[92:93]
	s_delay_alu instid0(VALU_DEP_4)
	v_add_f64 v[86:87], v[90:91], v[94:95]
	v_add_f64 v[80:81], v[80:81], -v[82:83]
	v_add_f64 v[82:83], v[98:99], -v[96:97]
	;; [unrolled: 1-line block ×4, first 2 shown]
	ds_store_b128 v170, v[0:3]
	ds_store_b128 v170, v[48:51] offset:1728
	ds_store_b128 v170, v[52:55] offset:10368
	;; [unrolled: 1-line block ×11, first 2 shown]
	s_waitcnt lgkmcnt(0)
	s_barrier
	buffer_gl0_inv
	ds_load_b128 v[0:3], v170
	ds_load_b128 v[48:51], v170 offset:1728
	scratch_load_b128 v[58:61], off, off    ; 16-byte Folded Reload
	s_waitcnt vmcnt(0) lgkmcnt(1)
	v_mul_f64 v[52:53], v[60:61], v[2:3]
	s_delay_alu instid0(VALU_DEP_1) | instskip(SKIP_1) | instid1(VALU_DEP_1)
	v_fma_f64 v[56:57], v[58:59], v[0:1], v[52:53]
	v_mul_f64 v[0:1], v[60:61], v[0:1]
	v_fma_f64 v[58:59], v[58:59], v[2:3], -v[0:1]
	ds_load_b128 v[0:3], v170 offset:3456
	ds_load_b128 v[52:55], v170 offset:5184
	s_waitcnt lgkmcnt(1)
	v_mul_f64 v[60:61], v[6:7], v[2:3]
	s_delay_alu instid0(VALU_DEP_1) | instskip(SKIP_1) | instid1(VALU_DEP_1)
	v_fma_f64 v[60:61], v[4:5], v[0:1], v[60:61]
	v_mul_f64 v[0:1], v[6:7], v[0:1]
	v_fma_f64 v[62:63], v[4:5], v[2:3], -v[0:1]
	ds_load_b128 v[0:3], v170 offset:6912
	ds_load_b128 v[4:7], v170 offset:8640
	s_waitcnt lgkmcnt(1)
	;; [unrolled: 8-line block ×5, first 2 shown]
	v_mul_f64 v[76:77], v[42:43], v[2:3]
	s_delay_alu instid0(VALU_DEP_1) | instskip(SKIP_1) | instid1(VALU_DEP_1)
	v_fma_f64 v[76:77], v[40:41], v[0:1], v[76:77]
	v_mul_f64 v[0:1], v[42:43], v[0:1]
	v_fma_f64 v[40:41], v[40:41], v[2:3], -v[0:1]
	v_mul_f64 v[0:1], v[10:11], v[50:51]
	s_delay_alu instid0(VALU_DEP_1) | instskip(SKIP_1) | instid1(VALU_DEP_1)
	v_fma_f64 v[42:43], v[8:9], v[48:49], v[0:1]
	v_mul_f64 v[0:1], v[10:11], v[48:49]
	v_fma_f64 v[48:49], v[8:9], v[50:51], -v[0:1]
	;; [unrolled: 5-line block ×6, first 2 shown]
	s_waitcnt lgkmcnt(0)
	v_mul_f64 v[0:1], v[38:39], v[34:35]
	s_delay_alu instid0(VALU_DEP_1) | instskip(SKIP_1) | instid1(VALU_DEP_1)
	v_fma_f64 v[82:83], v[36:37], v[32:33], v[0:1]
	v_mul_f64 v[0:1], v[38:39], v[32:33]
	v_fma_f64 v[34:35], v[36:37], v[34:35], -v[0:1]
	v_mad_u64_u32 v[0:1], null, s6, v168, 0
	s_mul_i32 s6, s4, 0xd80
	s_delay_alu instid0(VALU_DEP_1) | instskip(NEXT) | instid1(VALU_DEP_1)
	v_mad_u64_u32 v[2:3], null, s7, v168, v[1:2]
	v_mov_b32_e32 v1, v2
	v_mad_u64_u32 v[2:3], null, s4, v169, 0
	s_delay_alu instid0(VALU_DEP_2) | instskip(NEXT) | instid1(VALU_DEP_2)
	v_lshlrev_b64 v[0:1], 4, v[0:1]
	v_mad_u64_u32 v[4:5], null, s5, v169, v[3:4]
	s_delay_alu instid0(VALU_DEP_1) | instskip(NEXT) | instid1(VALU_DEP_3)
	v_mov_b32_e32 v3, v4
	v_add_co_u32 v4, vcc_lo, s0, v0
	s_delay_alu instid0(VALU_DEP_4) | instskip(NEXT) | instid1(VALU_DEP_3)
	v_add_co_ci_u32_e32 v5, vcc_lo, s1, v1, vcc_lo
	v_lshlrev_b64 v[0:1], 4, v[2:3]
	s_mov_b32 s0, 0xfcd6e9e0
	s_mov_b32 s1, 0x3f4948b0
	s_delay_alu instid0(SALU_CYCLE_1) | instskip(SKIP_1) | instid1(VALU_DEP_3)
	v_mul_f64 v[2:3], v[58:59], s[0:1]
	v_mul_f64 v[6:7], v[70:71], s[0:1]
	v_add_co_u32 v4, vcc_lo, v4, v0
	v_add_co_ci_u32_e32 v5, vcc_lo, v5, v1, vcc_lo
	v_mul_f64 v[0:1], v[56:57], s[0:1]
	v_mul_f64 v[10:11], v[40:41], s[0:1]
	;; [unrolled: 1-line block ×14, first 2 shown]
	global_store_b128 v[4:5], v[0:3], off
	v_mul_f64 v[0:1], v[60:61], s[0:1]
	v_mul_f64 v[2:3], v[62:63], s[0:1]
	v_add_co_u32 v4, vcc_lo, v4, s6
	v_add_co_ci_u32_e32 v5, vcc_lo, s3, v5, vcc_lo
	s_delay_alu instid0(VALU_DEP_2) | instskip(NEXT) | instid1(VALU_DEP_2)
	v_add_co_u32 v8, vcc_lo, v4, s6
	v_add_co_ci_u32_e32 v9, vcc_lo, s3, v5, vcc_lo
	s_delay_alu instid0(VALU_DEP_2) | instskip(NEXT) | instid1(VALU_DEP_2)
	;; [unrolled: 3-line block ×4, first 2 shown]
	v_add_co_u32 v56, vcc_lo, v38, s6
	v_add_co_ci_u32_e32 v57, vcc_lo, s3, v39, vcc_lo
	s_delay_alu instid0(VALU_DEP_1)
	v_mad_u64_u32 v[40:41], null, 0xffffc340, s4, v[56:57]
	global_store_b128 v[4:5], v[0:3], off
	v_mul_f64 v[0:1], v[64:65], s[0:1]
	v_mul_f64 v[2:3], v[66:67], s[0:1]
	;; [unrolled: 1-line block ×3, first 2 shown]
	global_store_b128 v[8:9], v[0:3], off
	v_mul_f64 v[0:1], v[72:73], s[0:1]
	v_mul_f64 v[2:3], v[74:75], s[0:1]
	;; [unrolled: 1-line block ×3, first 2 shown]
	s_mul_i32 s0, s5, 0xffffc340
	global_store_b128 v[36:37], v[4:7], off
	s_sub_i32 s0, s0, s4
	v_add_co_u32 v4, vcc_lo, v40, s6
	v_add_nc_u32_e32 v41, s0, v41
	s_delay_alu instid0(VALU_DEP_1) | instskip(NEXT) | instid1(VALU_DEP_3)
	v_add_co_ci_u32_e32 v5, vcc_lo, s3, v41, vcc_lo
	v_add_co_u32 v6, vcc_lo, v4, s6
	s_delay_alu instid0(VALU_DEP_2) | instskip(NEXT) | instid1(VALU_DEP_2)
	v_add_co_ci_u32_e32 v7, vcc_lo, s3, v5, vcc_lo
	v_add_co_u32 v36, vcc_lo, v6, s6
	s_delay_alu instid0(VALU_DEP_2) | instskip(SKIP_3) | instid1(VALU_DEP_2)
	v_add_co_ci_u32_e32 v37, vcc_lo, s3, v7, vcc_lo
	global_store_b128 v[38:39], v[0:3], off
	v_add_co_u32 v0, vcc_lo, v36, s6
	v_add_co_ci_u32_e32 v1, vcc_lo, s3, v37, vcc_lo
	v_add_co_u32 v2, vcc_lo, v0, s6
	s_delay_alu instid0(VALU_DEP_2)
	v_add_co_ci_u32_e32 v3, vcc_lo, s3, v1, vcc_lo
	global_store_b128 v[56:57], v[8:11], off
	global_store_b128 v[40:41], v[12:15], off
	;; [unrolled: 1-line block ×7, first 2 shown]
.LBB0_2:
	s_nop 0
	s_sendmsg sendmsg(MSG_DEALLOC_VGPRS)
	s_endpgm
	.section	.rodata,"a",@progbits
	.p2align	6, 0x0
	.amdhsa_kernel bluestein_single_fwd_len1296_dim1_dp_op_CI_CI
		.amdhsa_group_segment_fixed_size 20736
		.amdhsa_private_segment_fixed_size 20
		.amdhsa_kernarg_size 104
		.amdhsa_user_sgpr_count 15
		.amdhsa_user_sgpr_dispatch_ptr 0
		.amdhsa_user_sgpr_queue_ptr 0
		.amdhsa_user_sgpr_kernarg_segment_ptr 1
		.amdhsa_user_sgpr_dispatch_id 0
		.amdhsa_user_sgpr_private_segment_size 0
		.amdhsa_wavefront_size32 1
		.amdhsa_uses_dynamic_stack 0
		.amdhsa_enable_private_segment 1
		.amdhsa_system_sgpr_workgroup_id_x 1
		.amdhsa_system_sgpr_workgroup_id_y 0
		.amdhsa_system_sgpr_workgroup_id_z 0
		.amdhsa_system_sgpr_workgroup_info 0
		.amdhsa_system_vgpr_workitem_id 0
		.amdhsa_next_free_vgpr 255
		.amdhsa_next_free_sgpr 20
		.amdhsa_reserve_vcc 1
		.amdhsa_float_round_mode_32 0
		.amdhsa_float_round_mode_16_64 0
		.amdhsa_float_denorm_mode_32 3
		.amdhsa_float_denorm_mode_16_64 3
		.amdhsa_dx10_clamp 1
		.amdhsa_ieee_mode 1
		.amdhsa_fp16_overflow 0
		.amdhsa_workgroup_processor_mode 1
		.amdhsa_memory_ordered 1
		.amdhsa_forward_progress 0
		.amdhsa_shared_vgpr_count 0
		.amdhsa_exception_fp_ieee_invalid_op 0
		.amdhsa_exception_fp_denorm_src 0
		.amdhsa_exception_fp_ieee_div_zero 0
		.amdhsa_exception_fp_ieee_overflow 0
		.amdhsa_exception_fp_ieee_underflow 0
		.amdhsa_exception_fp_ieee_inexact 0
		.amdhsa_exception_int_div_zero 0
	.end_amdhsa_kernel
	.text
.Lfunc_end0:
	.size	bluestein_single_fwd_len1296_dim1_dp_op_CI_CI, .Lfunc_end0-bluestein_single_fwd_len1296_dim1_dp_op_CI_CI
                                        ; -- End function
	.section	.AMDGPU.csdata,"",@progbits
; Kernel info:
; codeLenInByte = 14948
; NumSgprs: 22
; NumVgprs: 255
; ScratchSize: 20
; MemoryBound: 0
; FloatMode: 240
; IeeeMode: 1
; LDSByteSize: 20736 bytes/workgroup (compile time only)
; SGPRBlocks: 2
; VGPRBlocks: 31
; NumSGPRsForWavesPerEU: 22
; NumVGPRsForWavesPerEU: 255
; Occupancy: 5
; WaveLimiterHint : 1
; COMPUTE_PGM_RSRC2:SCRATCH_EN: 1
; COMPUTE_PGM_RSRC2:USER_SGPR: 15
; COMPUTE_PGM_RSRC2:TRAP_HANDLER: 0
; COMPUTE_PGM_RSRC2:TGID_X_EN: 1
; COMPUTE_PGM_RSRC2:TGID_Y_EN: 0
; COMPUTE_PGM_RSRC2:TGID_Z_EN: 0
; COMPUTE_PGM_RSRC2:TIDIG_COMP_CNT: 0
	.text
	.p2alignl 7, 3214868480
	.fill 96, 4, 3214868480
	.type	__hip_cuid_e275ac4eabc5837d,@object ; @__hip_cuid_e275ac4eabc5837d
	.section	.bss,"aw",@nobits
	.globl	__hip_cuid_e275ac4eabc5837d
__hip_cuid_e275ac4eabc5837d:
	.byte	0                               ; 0x0
	.size	__hip_cuid_e275ac4eabc5837d, 1

	.ident	"AMD clang version 19.0.0git (https://github.com/RadeonOpenCompute/llvm-project roc-6.4.0 25133 c7fe45cf4b819c5991fe208aaa96edf142730f1d)"
	.section	".note.GNU-stack","",@progbits
	.addrsig
	.addrsig_sym __hip_cuid_e275ac4eabc5837d
	.amdgpu_metadata
---
amdhsa.kernels:
  - .args:
      - .actual_access:  read_only
        .address_space:  global
        .offset:         0
        .size:           8
        .value_kind:     global_buffer
      - .actual_access:  read_only
        .address_space:  global
        .offset:         8
        .size:           8
        .value_kind:     global_buffer
      - .actual_access:  read_only
        .address_space:  global
        .offset:         16
        .size:           8
        .value_kind:     global_buffer
      - .actual_access:  read_only
        .address_space:  global
        .offset:         24
        .size:           8
        .value_kind:     global_buffer
      - .actual_access:  read_only
        .address_space:  global
        .offset:         32
        .size:           8
        .value_kind:     global_buffer
      - .offset:         40
        .size:           8
        .value_kind:     by_value
      - .address_space:  global
        .offset:         48
        .size:           8
        .value_kind:     global_buffer
      - .address_space:  global
        .offset:         56
        .size:           8
        .value_kind:     global_buffer
      - .address_space:  global
        .offset:         64
        .size:           8
        .value_kind:     global_buffer
      - .address_space:  global
        .offset:         72
        .size:           8
        .value_kind:     global_buffer
      - .offset:         80
        .size:           4
        .value_kind:     by_value
      - .address_space:  global
        .offset:         88
        .size:           8
        .value_kind:     global_buffer
      - .address_space:  global
        .offset:         96
        .size:           8
        .value_kind:     global_buffer
    .group_segment_fixed_size: 20736
    .kernarg_segment_align: 8
    .kernarg_segment_size: 104
    .language:       OpenCL C
    .language_version:
      - 2
      - 0
    .max_flat_workgroup_size: 108
    .name:           bluestein_single_fwd_len1296_dim1_dp_op_CI_CI
    .private_segment_fixed_size: 20
    .sgpr_count:     22
    .sgpr_spill_count: 0
    .symbol:         bluestein_single_fwd_len1296_dim1_dp_op_CI_CI.kd
    .uniform_work_group_size: 1
    .uses_dynamic_stack: false
    .vgpr_count:     255
    .vgpr_spill_count: 4
    .wavefront_size: 32
    .workgroup_processor_mode: 1
amdhsa.target:   amdgcn-amd-amdhsa--gfx1100
amdhsa.version:
  - 1
  - 2
...

	.end_amdgpu_metadata
